;; amdgpu-corpus repo=ROCm/rocFFT kind=compiled arch=gfx906 opt=O3
	.text
	.amdgcn_target "amdgcn-amd-amdhsa--gfx906"
	.amdhsa_code_object_version 6
	.protected	bluestein_single_back_len1053_dim1_sp_op_CI_CI ; -- Begin function bluestein_single_back_len1053_dim1_sp_op_CI_CI
	.globl	bluestein_single_back_len1053_dim1_sp_op_CI_CI
	.p2align	8
	.type	bluestein_single_back_len1053_dim1_sp_op_CI_CI,@function
bluestein_single_back_len1053_dim1_sp_op_CI_CI: ; @bluestein_single_back_len1053_dim1_sp_op_CI_CI
; %bb.0:
	s_load_dwordx4 s[16:19], s[4:5], 0x28
	v_mul_u32_u24_e32 v1, 0x231, v0
	v_add_u32_sdwa v72, s6, v1 dst_sel:DWORD dst_unused:UNUSED_PAD src0_sel:DWORD src1_sel:WORD_1
	v_mov_b32_e32 v73, 0
	s_waitcnt lgkmcnt(0)
	v_cmp_gt_u64_e32 vcc, s[16:17], v[72:73]
	s_and_saveexec_b64 s[0:1], vcc
	s_cbranch_execz .LBB0_10
; %bb.1:
	s_load_dwordx4 s[0:3], s[4:5], 0x18
	s_load_dwordx4 s[12:15], s[4:5], 0x0
	v_mov_b32_e32 v14, 0xffffedb8
                                        ; implicit-def: $vgpr60
                                        ; implicit-def: $vgpr56
	s_waitcnt lgkmcnt(0)
	s_load_dwordx4 s[8:11], s[0:1], 0x0
	s_movk_i32 s0, 0x75
	v_mul_lo_u16_sdwa v1, v1, s0 dst_sel:DWORD dst_unused:UNUSED_PAD src0_sel:WORD_1 src1_sel:DWORD
	v_sub_u16_e32 v92, v0, v1
	v_lshlrev_b32_e32 v91, 3, v92
	s_waitcnt lgkmcnt(0)
	v_mad_u64_u32 v[0:1], s[6:7], s10, v72, 0
	v_mad_u64_u32 v[2:3], s[6:7], s8, v92, 0
	s_mul_i32 s1, s9, 0xaf8
	s_mul_i32 s10, s8, 0xaf8
	v_mad_u64_u32 v[4:5], s[6:7], s11, v72, v[1:2]
	global_load_dwordx2 v[81:82], v91, s[12:13] offset:2808
	v_add_u32_e32 v24, 0x400, v91
	v_mad_u64_u32 v[5:6], s[6:7], s9, v92, v[3:4]
	v_mov_b32_e32 v1, v4
	v_lshlrev_b64 v[0:1], 3, v[0:1]
	v_mov_b32_e32 v6, s19
	v_mov_b32_e32 v3, v5
	v_add_co_u32_e32 v4, vcc, s18, v0
	v_addc_co_u32_e32 v5, vcc, v6, v1, vcc
	v_lshlrev_b64 v[0:1], 3, v[2:3]
	v_mov_b32_e32 v2, s13
	v_add_co_u32_e32 v0, vcc, v4, v0
	v_addc_co_u32_e32 v1, vcc, v5, v1, vcc
	v_add_co_u32_e32 v12, vcc, s12, v91
	s_mul_hi_u32 s6, s8, 0xaf8
	v_addc_co_u32_e32 v13, vcc, 0, v2, vcc
	s_add_i32 s1, s6, s1
	v_mov_b32_e32 v3, s1
	v_add_co_u32_e32 v2, vcc, s10, v0
	v_addc_co_u32_e32 v3, vcc, v1, v3, vcc
	v_mov_b32_e32 v5, s1
	v_add_co_u32_e32 v4, vcc, s10, v2
	v_addc_co_u32_e32 v5, vcc, v3, v5, vcc
	s_movk_i32 s6, 0x1000
	global_load_dwordx2 v[6:7], v[0:1], off
	global_load_dwordx2 v[8:9], v[2:3], off
	;; [unrolled: 1-line block ×3, first 2 shown]
	v_add_co_u32_e32 v0, vcc, s6, v12
	v_mad_u64_u32 v[2:3], s[6:7], s8, v14, v[4:5]
	s_mul_i32 s6, s9, 0xffffedb8
	s_sub_i32 s9, s6, s8
	v_addc_co_u32_e32 v1, vcc, 0, v13, vcc
	global_load_dwordx2 v[85:86], v91, s[12:13]
	global_load_dwordx2 v[83:84], v[0:1], off offset:1520
	v_add_u32_e32 v3, s9, v3
	global_load_dwordx2 v[4:5], v[2:3], off
	global_load_dwordx2 v[79:80], v91, s[12:13] offset:936
	v_mov_b32_e32 v12, s1
	v_add_co_u32_e32 v2, vcc, s10, v2
	v_addc_co_u32_e32 v3, vcc, v3, v12, vcc
	global_load_dwordx2 v[12:13], v[2:3], off
	global_load_dwordx2 v[77:78], v91, s[12:13] offset:3744
	v_mov_b32_e32 v15, s1
	v_add_co_u32_e32 v2, vcc, s10, v2
	v_addc_co_u32_e32 v3, vcc, v3, v15, vcc
	v_mad_u64_u32 v[14:15], s[6:7], s8, v14, v[2:3]
	global_load_dwordx2 v[16:17], v[2:3], off
	global_load_dwordx2 v[75:76], v[0:1], off offset:2456
	v_mov_b32_e32 v18, s1
	v_add_u32_e32 v15, s9, v15
	global_load_dwordx2 v[2:3], v[14:15], off
	global_load_dwordx2 v[70:71], v91, s[12:13] offset:1872
	v_add_co_u32_e32 v14, vcc, s10, v14
	v_addc_co_u32_e32 v15, vcc, v15, v18, vcc
	global_load_dwordx2 v[18:19], v[14:15], off
	global_load_dwordx2 v[68:69], v[0:1], off offset:3392
	global_load_dwordx2 v[73:74], v[0:1], off offset:584
	v_mov_b32_e32 v1, s1
	v_add_co_u32_e32 v0, vcc, s10, v14
	v_addc_co_u32_e32 v1, vcc, v15, v1, vcc
	global_load_dwordx2 v[14:15], v[0:1], off
	v_add_u32_e32 v25, 0x1400, v91
	s_load_dwordx4 s[8:11], s[2:3], 0x0
	v_add_co_u32_e32 v65, vcc, s0, v92
	s_movk_i32 s0, 0xea
	v_add_co_u32_e32 v66, vcc, s0, v92
	s_movk_i32 s0, 0xab
	s_load_dwordx2 s[2:3], s[4:5], 0x38
	s_waitcnt vmcnt(13)
	v_mul_f32_e32 v0, v7, v86
	v_mul_f32_e32 v1, v6, v86
	v_fmac_f32_e32 v0, v6, v85
	v_fma_f32 v1, v7, v85, -v1
	v_mul_f32_e32 v6, v9, v82
	v_mul_f32_e32 v7, v8, v82
	v_fmac_f32_e32 v6, v8, v81
	v_fma_f32 v7, v9, v81, -v7
	ds_write_b64 v91, v[6:7] offset:2808
	s_waitcnt vmcnt(12)
	v_mul_f32_e32 v6, v11, v84
	v_mul_f32_e32 v7, v10, v84
	v_fmac_f32_e32 v6, v10, v83
	v_fma_f32 v7, v11, v83, -v7
	ds_write_b64 v91, v[6:7] offset:5616
	s_waitcnt vmcnt(10)
	v_mul_f32_e32 v6, v5, v80
	v_fmac_f32_e32 v6, v4, v79
	v_mul_f32_e32 v4, v4, v80
	v_fma_f32 v7, v5, v79, -v4
	ds_write2_b64 v91, v[0:1], v[6:7] offset1:117
	s_waitcnt vmcnt(8)
	v_mul_f32_e32 v0, v12, v78
	v_fma_f32 v5, v13, v77, -v0
	s_waitcnt vmcnt(6)
	v_mul_f32_e32 v0, v16, v76
	v_fma_f32 v7, v17, v75, -v0
	s_waitcnt vmcnt(4)
	v_mul_f32_e32 v0, v3, v71
	v_mul_f32_e32 v1, v2, v71
	v_fmac_f32_e32 v0, v2, v70
	v_fma_f32 v1, v3, v70, -v1
	v_mul_f32_e32 v4, v13, v78
	ds_write_b64 v91, v[0:1] offset:1872
	s_waitcnt vmcnt(1)
	v_mul_f32_e32 v2, v19, v74
	v_mul_f32_e32 v0, v18, v74
	v_fmac_f32_e32 v4, v12, v77
	v_fmac_f32_e32 v2, v18, v73
	v_fma_f32 v3, v19, v73, -v0
	v_add_u32_e32 v1, 0xc00, v91
	v_mul_f32_e32 v6, v17, v76
	ds_write2_b64 v1, v[4:5], v[2:3] offset0:84 offset1:201
	s_waitcnt vmcnt(0)
	v_mul_f32_e32 v2, v15, v69
	v_mul_f32_e32 v0, v14, v69
	v_fmac_f32_e32 v6, v16, v75
	v_fmac_f32_e32 v2, v14, v68
	v_fma_f32 v3, v15, v68, -v0
	v_add_u32_e32 v0, 0x1800, v91
	ds_write2_b64 v0, v[6:7], v[2:3] offset0:51 offset1:168
	s_waitcnt lgkmcnt(0)
	s_barrier
	ds_read2_b64 v[6:9], v24 offset0:106 offset1:223
	ds_read2_b64 v[10:13], v25 offset0:62 offset1:179
	ds_read2_b64 v[2:5], v91 offset1:117
	ds_read2_b64 v[14:17], v1 offset0:84 offset1:201
	ds_read_b64 v[18:19], v91 offset:7488
	s_waitcnt lgkmcnt(0)
	s_barrier
	v_add_f32_e32 v21, v8, v10
	v_add_f32_e32 v20, v2, v8
	v_fma_f32 v2, -0.5, v21, v2
	v_sub_f32_e32 v21, v9, v11
	v_mov_b32_e32 v22, v2
	v_fmac_f32_e32 v22, 0x3f5db3d7, v21
	v_fmac_f32_e32 v2, 0xbf5db3d7, v21
	v_add_f32_e32 v21, v3, v9
	v_add_f32_e32 v9, v9, v11
	v_fma_f32 v3, -0.5, v9, v3
	v_sub_f32_e32 v8, v8, v10
	v_mov_b32_e32 v23, v3
	v_add_f32_e32 v9, v14, v12
	v_fmac_f32_e32 v23, 0xbf5db3d7, v8
	v_fmac_f32_e32 v3, 0x3f5db3d7, v8
	v_add_f32_e32 v8, v4, v14
	v_fma_f32 v4, -0.5, v9, v4
	v_add_f32_e32 v20, v20, v10
	v_add_f32_e32 v21, v21, v11
	v_sub_f32_e32 v9, v15, v13
	v_mov_b32_e32 v10, v4
	v_add_f32_e32 v11, v15, v13
	v_fmac_f32_e32 v10, 0x3f5db3d7, v9
	v_fmac_f32_e32 v4, 0xbf5db3d7, v9
	v_add_f32_e32 v9, v5, v15
	v_fmac_f32_e32 v5, -0.5, v11
	v_add_f32_e32 v8, v8, v12
	v_add_f32_e32 v9, v9, v13
	v_sub_f32_e32 v12, v14, v12
	v_mov_b32_e32 v11, v5
	v_add_f32_e32 v13, v16, v18
	v_fmac_f32_e32 v11, 0xbf5db3d7, v12
	v_fmac_f32_e32 v5, 0x3f5db3d7, v12
	v_add_f32_e32 v12, v6, v16
	v_fma_f32 v6, -0.5, v13, v6
	v_sub_f32_e32 v13, v17, v19
	v_mov_b32_e32 v14, v6
	v_add_f32_e32 v15, v17, v19
	v_fmac_f32_e32 v14, 0x3f5db3d7, v13
	v_fmac_f32_e32 v6, 0xbf5db3d7, v13
	v_add_f32_e32 v13, v7, v17
	v_fmac_f32_e32 v7, -0.5, v15
	v_sub_f32_e32 v16, v16, v18
	v_mov_b32_e32 v15, v7
	v_fmac_f32_e32 v15, 0xbf5db3d7, v16
	v_fmac_f32_e32 v7, 0x3f5db3d7, v16
	v_mul_lo_u16_e32 v16, 3, v92
	v_lshlrev_b32_e32 v62, 3, v16
	ds_write2_b64 v62, v[20:21], v[22:23] offset1:1
	ds_write_b64 v62, v[2:3] offset:16
	v_mul_u32_u24_e32 v2, 3, v65
	v_lshlrev_b32_e32 v63, 3, v2
	v_mul_u32_u24_e32 v2, 3, v66
	v_add_f32_e32 v12, v12, v18
	v_add_f32_e32 v13, v13, v19
	v_lshlrev_b32_e32 v64, 3, v2
	v_mul_lo_u16_sdwa v2, v92, s0 dst_sel:DWORD dst_unused:UNUSED_PAD src0_sel:BYTE_0 src1_sel:DWORD
	ds_write2_b64 v63, v[8:9], v[10:11] offset1:1
	ds_write_b64 v63, v[4:5] offset:16
	ds_write2_b64 v64, v[12:13], v[14:15] offset1:1
	ds_write_b64 v64, v[6:7] offset:16
	v_lshrrev_b16_e32 v6, 9, v2
	v_mul_lo_u16_e32 v2, 3, v6
	v_sub_u16_e32 v2, v92, v2
	v_mul_lo_u16_sdwa v3, v65, s0 dst_sel:DWORD dst_unused:UNUSED_PAD src0_sel:BYTE_0 src1_sel:DWORD
	v_and_b32_e32 v7, 0xff, v2
	v_lshrrev_b16_e32 v26, 9, v3
	v_lshlrev_b32_e32 v2, 4, v7
	v_mul_lo_u16_e32 v3, 3, v26
	s_waitcnt lgkmcnt(0)
	s_barrier
	global_load_dwordx4 v[12:15], v2, s[14:15]
	v_sub_u16_e32 v2, v65, v3
	v_and_b32_e32 v27, 0xff, v2
	v_lshlrev_b32_e32 v2, 4, v27
	s_mov_b32 s0, 0xaaab
	global_load_dwordx4 v[8:11], v2, s[14:15]
	v_mul_u32_u24_sdwa v2, v66, s0 dst_sel:DWORD dst_unused:UNUSED_PAD src0_sel:WORD_0 src1_sel:DWORD
	v_lshrrev_b32_e32 v28, 17, v2
	v_mul_lo_u16_e32 v2, 3, v28
	v_sub_u16_e32 v29, v66, v2
	v_lshlrev_b16_e32 v2, 1, v29
	v_lshlrev_b32_e32 v2, 3, v2
	global_load_dwordx4 v[16:19], v2, s[14:15]
	ds_read2_b64 v[2:5], v25 offset0:62 offset1:179
	ds_read2_b64 v[20:23], v1 offset0:84 offset1:201
	;; [unrolled: 1-line block ×3, first 2 shown]
	ds_read2_b64 v[44:47], v91 offset1:117
	s_movk_i32 s0, 0x51
	v_cmp_gt_u16_e32 vcc, s0, v92
	s_waitcnt vmcnt(2) lgkmcnt(3)
	v_mul_f32_e32 v25, v3, v15
	v_fma_f32 v25, v2, v14, -v25
	v_mul_f32_e32 v30, v2, v15
	v_fmac_f32_e32 v30, v3, v14
	s_waitcnt lgkmcnt(1)
	v_mul_f32_e32 v24, v42, v13
	s_waitcnt vmcnt(1)
	v_mul_f32_e32 v2, v5, v11
	v_fma_f32 v31, v4, v10, -v2
	v_mul_f32_e32 v4, v4, v11
	v_mul_f32_e32 v2, v21, v9
	v_fmac_f32_e32 v4, v5, v10
	v_fma_f32 v5, v20, v8, -v2
	ds_read_b64 v[2:3], v91 offset:7488
	v_mul_f32_e32 v20, v20, v9
	v_fmac_f32_e32 v20, v21, v8
	s_waitcnt vmcnt(0)
	v_mul_f32_e32 v21, v23, v17
	v_fma_f32 v21, v22, v16, -v21
	v_mul_f32_e32 v22, v22, v17
	v_fmac_f32_e32 v22, v23, v16
	s_waitcnt lgkmcnt(0)
	v_mul_f32_e32 v23, v3, v19
	v_fma_f32 v23, v2, v18, -v23
	v_mul_f32_e32 v2, v2, v19
	v_fmac_f32_e32 v2, v3, v18
	v_mul_f32_e32 v3, v43, v13
	v_fma_f32 v3, v42, v12, -v3
	v_add_f32_e32 v33, v3, v25
	v_fmac_f32_e32 v24, v43, v12
	v_add_f32_e32 v32, v44, v3
	v_fma_f32 v48, -0.5, v33, v44
	v_add_f32_e32 v36, v32, v25
	v_mov_b32_e32 v38, v48
	v_sub_f32_e32 v32, v24, v30
	v_fmac_f32_e32 v38, 0x3f5db3d7, v32
	v_fmac_f32_e32 v48, 0xbf5db3d7, v32
	v_add_f32_e32 v32, v45, v24
	v_add_f32_e32 v24, v24, v30
	v_fma_f32 v49, -0.5, v24, v45
	v_sub_f32_e32 v3, v3, v25
	v_mov_b32_e32 v39, v49
	v_fmac_f32_e32 v39, 0xbf5db3d7, v3
	v_fmac_f32_e32 v49, 0x3f5db3d7, v3
	v_add_f32_e32 v3, v46, v5
	v_add_f32_e32 v50, v3, v31
	;; [unrolled: 1-line block ×3, first 2 shown]
	v_fma_f32 v46, -0.5, v3, v46
	v_mov_b32_e32 v44, v46
	v_sub_f32_e32 v3, v20, v4
	v_fmac_f32_e32 v44, 0x3f5db3d7, v3
	v_fmac_f32_e32 v46, 0xbf5db3d7, v3
	v_add_f32_e32 v3, v47, v20
	v_add_f32_e32 v51, v3, v4
	;; [unrolled: 1-line block ×3, first 2 shown]
	v_fmac_f32_e32 v47, -0.5, v3
	v_sub_f32_e32 v3, v5, v31
	v_mov_b32_e32 v45, v47
	v_add_f32_e32 v4, v21, v23
	v_fmac_f32_e32 v45, 0xbf5db3d7, v3
	v_fmac_f32_e32 v47, 0x3f5db3d7, v3
	v_add_f32_e32 v3, v40, v21
	v_fma_f32 v40, -0.5, v4, v40
	v_add_f32_e32 v52, v3, v23
	v_mov_b32_e32 v54, v40
	v_sub_f32_e32 v3, v22, v2
	v_fmac_f32_e32 v54, 0x3f5db3d7, v3
	v_fmac_f32_e32 v40, 0xbf5db3d7, v3
	v_add_f32_e32 v3, v41, v22
	v_add_f32_e32 v53, v3, v2
	;; [unrolled: 1-line block ×3, first 2 shown]
	v_fmac_f32_e32 v41, -0.5, v2
	v_sub_f32_e32 v2, v21, v23
	v_mov_b32_e32 v55, v41
	v_fmac_f32_e32 v55, 0xbf5db3d7, v2
	v_fmac_f32_e32 v41, 0x3f5db3d7, v2
	v_mul_u32_u24_e32 v2, 9, v6
	v_add_lshl_u32 v95, v2, v7, 3
	v_mul_u32_u24_e32 v2, 9, v26
	v_add_lshl_u32 v96, v2, v27, 3
	v_mad_legacy_u16 v2, v28, 9, v29
	v_add_f32_e32 v37, v32, v30
	v_lshlrev_b32_e32 v97, 3, v2
	s_barrier
	ds_write2_b64 v95, v[36:37], v[38:39] offset1:3
	ds_write_b64 v95, v[48:49] offset:48
	ds_write2_b64 v96, v[50:51], v[44:45] offset1:3
	ds_write_b64 v96, v[46:47] offset:48
	;; [unrolled: 2-line block ×3, first 2 shown]
	s_waitcnt lgkmcnt(0)
	s_barrier
	s_and_saveexec_b64 s[0:1], vcc
	s_cbranch_execz .LBB0_3
; %bb.2:
	v_add_u32_e32 v2, 0x800, v91
	ds_read2_b64 v[36:39], v91 offset1:81
	ds_read2_b64 v[48:51], v91 offset0:162 offset1:243
	ds_read2_b64 v[44:47], v2 offset0:68 offset1:149
	;; [unrolled: 1-line block ×3, first 2 shown]
	v_add_u32_e32 v1, 0x1000, v91
	ds_read2_b64 v[40:43], v1 offset0:136 offset1:217
	ds_read2_b64 v[56:59], v0 offset0:42 offset1:123
	ds_read_b64 v[60:61], v91 offset:7776
.LBB0_3:
	s_or_b64 exec, exec, s[0:1]
	v_mov_b32_e32 v0, 57
	v_mul_lo_u16_sdwa v0, v92, v0 dst_sel:DWORD dst_unused:UNUSED_PAD src0_sel:BYTE_0 src1_sel:DWORD
	v_lshrrev_b16_e32 v93, 9, v0
	v_mul_lo_u16_e32 v0, 9, v93
	v_sub_u16_e32 v0, v92, v0
	v_and_b32_e32 v94, 0xff, v0
	v_mov_b32_e32 v0, s14
	s_movk_i32 s0, 0x60
	v_mov_b32_e32 v1, s15
	v_mad_u64_u32 v[87:88], s[0:1], v94, s0, v[0:1]
	global_load_dwordx4 v[24:27], v[87:88], off offset:48
	global_load_dwordx4 v[20:23], v[87:88], off offset:64
	;; [unrolled: 1-line block ×6, first 2 shown]
	s_mov_b32 s4, 0x3f62ad3f
	s_mov_b32 s5, 0x3f116cb1
	;; [unrolled: 1-line block ×6, first 2 shown]
	s_waitcnt vmcnt(0) lgkmcnt(0)
	s_barrier
	v_mul_f32_e32 v67, v38, v25
	v_mul_f32_e32 v98, v48, v27
	v_fmac_f32_e32 v67, v39, v24
	v_mul_f32_e32 v87, v39, v25
	v_mul_f32_e32 v99, v50, v21
	;; [unrolled: 1-line block ×4, first 2 shown]
	v_fmac_f32_e32 v109, v61, v34
	v_mul_f32_e32 v100, v44, v23
	v_mul_f32_e32 v110, v47, v5
	;; [unrolled: 1-line block ×5, first 2 shown]
	v_fmac_f32_e32 v98, v49, v26
	v_fmac_f32_e32 v107, v59, v32
	v_sub_f32_e32 v120, v67, v109
	v_mul_f32_e32 v88, v49, v27
	v_mul_f32_e32 v90, v45, v23
	;; [unrolled: 1-line block ×5, first 2 shown]
	v_fma_f32 v108, v38, v24, -v87
	v_fmac_f32_e32 v99, v51, v20
	v_fmac_f32_e32 v100, v45, v22
	v_fma_f32 v45, v46, v4, -v110
	v_fmac_f32_e32 v102, v53, v6
	v_fmac_f32_e32 v106, v57, v30
	v_fma_f32 v53, v60, v34, -v117
	v_sub_f32_e32 v122, v98, v107
	v_mul_f32_e32 v110, 0xbeedf032, v120
	v_mul_f32_e32 v89, v51, v21
	v_mul_f32_e32 v101, v46, v5
	v_mul_f32_e32 v112, v55, v1
	v_mul_f32_e32 v113, v41, v3
	v_mul_f32_e32 v114, v43, v29
	v_mul_f32_e32 v115, v57, v31
	v_fma_f32 v48, v48, v26, -v88
	v_fma_f32 v46, v52, v6, -v111
	v_fmac_f32_e32 v103, v55, v0
	v_fma_f32 v52, v58, v32, -v116
	v_add_f32_e32 v38, v108, v53
	v_sub_f32_e32 v124, v108, v53
	v_sub_f32_e32 v127, v99, v106
	v_mul_f32_e32 v111, 0xbf52af12, v122
	v_mov_b32_e32 v55, v110
	v_mul_f32_e32 v104, v40, v3
	v_mul_f32_e32 v105, v42, v29
	v_fma_f32 v49, v50, v20, -v89
	v_fmac_f32_e32 v101, v47, v4
	v_fma_f32 v47, v54, v0, -v112
	v_fma_f32 v50, v40, v2, -v113
	v_fma_f32 v42, v42, v28, -v114
	v_fma_f32 v51, v56, v30, -v115
	v_add_f32_e32 v40, v67, v109
	v_add_f32_e32 v39, v48, v52
	v_sub_f32_e32 v125, v48, v52
	v_mul_f32_e32 v114, 0xbeedf032, v124
	v_mul_f32_e32 v112, 0xbf7e222b, v127
	v_mov_b32_e32 v57, v111
	v_fmac_f32_e32 v55, 0x3f62ad3f, v38
	v_fmac_f32_e32 v104, v41, v2
	;; [unrolled: 1-line block ×3, first 2 shown]
	v_add_f32_e32 v41, v98, v107
	v_add_f32_e32 v43, v49, v51
	v_sub_f32_e32 v129, v49, v51
	v_mul_f32_e32 v115, 0xbf52af12, v125
	v_fma_f32 v56, v40, s4, -v114
	v_mov_b32_e32 v59, v112
	v_fmac_f32_e32 v57, 0x3f116cb1, v39
	v_add_f32_e32 v55, v36, v55
	v_add_f32_e32 v54, v99, v106
	v_mul_f32_e32 v116, 0xbf7e222b, v129
	v_fma_f32 v58, v41, s5, -v115
	v_add_f32_e32 v56, v37, v56
	v_fmac_f32_e32 v59, 0x3df6dbef, v43
	v_add_f32_e32 v55, v57, v55
	v_sub_f32_e32 v131, v100, v105
	v_fma_f32 v44, v44, v22, -v90
	v_add_f32_e32 v56, v58, v56
	v_add_f32_e32 v57, v59, v55
	v_fma_f32 v55, v54, s6, -v116
	v_mul_f32_e32 v118, 0xbf6f5d39, v131
	v_add_f32_e32 v56, v55, v56
	v_add_f32_e32 v55, v44, v42
	v_mov_b32_e32 v58, v118
	v_sub_f32_e32 v135, v44, v42
	v_add_f32_e32 v60, v100, v105
	v_fmac_f32_e32 v58, 0xbeb58ec6, v55
	v_mul_f32_e32 v121, 0xbf6f5d39, v135
	v_sub_f32_e32 v137, v101, v104
	v_add_f32_e32 v57, v58, v57
	v_fma_f32 v58, v60, s7, -v121
	v_mul_f32_e32 v123, 0xbf29c268, v137
	v_add_f32_e32 v56, v58, v56
	v_add_f32_e32 v61, v45, v50
	v_mov_b32_e32 v58, v123
	v_sub_f32_e32 v146, v45, v50
	v_fmac_f32_e32 v58, 0xbf3f9e67, v61
	v_add_f32_e32 v113, v101, v104
	v_mul_f32_e32 v126, 0xbf29c268, v146
	v_sub_f32_e32 v147, v102, v103
	v_add_f32_e32 v57, v58, v57
	v_fma_f32 v58, v113, s17, -v126
	v_mul_f32_e32 v128, 0xbe750f2a, v147
	v_add_f32_e32 v56, v58, v56
	v_add_f32_e32 v117, v46, v47
	v_mov_b32_e32 v58, v128
	v_sub_f32_e32 v153, v46, v47
	v_fmac_f32_e32 v58, 0xbf788fa5, v117
	v_add_f32_e32 v119, v102, v103
	v_mul_f32_e32 v130, 0xbe750f2a, v153
	v_add_f32_e32 v87, v58, v57
	v_fma_f32 v57, v119, s16, -v130
	v_mul_f32_e32 v132, 0xbf52af12, v120
	v_add_f32_e32 v88, v57, v56
	v_mov_b32_e32 v56, v132
	v_mul_f32_e32 v133, 0xbf6f5d39, v122
	v_fmac_f32_e32 v56, 0x3f116cb1, v38
	v_mov_b32_e32 v57, v133
	v_add_f32_e32 v56, v36, v56
	v_fmac_f32_e32 v57, 0xbeb58ec6, v39
	v_mul_f32_e32 v138, 0xbf52af12, v124
	v_add_f32_e32 v56, v57, v56
	v_fma_f32 v57, v40, s5, -v138
	v_mul_f32_e32 v140, 0xbf6f5d39, v125
	v_add_f32_e32 v57, v37, v57
	v_fma_f32 v58, v41, s7, -v140
	v_mul_f32_e32 v134, 0xbe750f2a, v127
	v_add_f32_e32 v57, v58, v57
	v_mov_b32_e32 v58, v134
	v_fmac_f32_e32 v58, 0xbf788fa5, v43
	v_mul_f32_e32 v142, 0xbe750f2a, v129
	v_add_f32_e32 v56, v58, v56
	v_fma_f32 v58, v54, s16, -v142
	v_mul_f32_e32 v136, 0x3f29c268, v131
	v_add_f32_e32 v57, v58, v57
	v_mov_b32_e32 v58, v136
	v_fmac_f32_e32 v58, 0xbf3f9e67, v55
	;; [unrolled: 7-line block ×4, first 2 shown]
	v_mul_f32_e32 v145, 0x3eedf032, v153
	v_mul_f32_e32 v148, 0xbf7e222b, v120
	v_fma_f32 v59, v119, s4, -v145
	v_add_f32_e32 v58, v58, v56
	v_mov_b32_e32 v56, v148
	v_mul_f32_e32 v149, 0xbe750f2a, v122
	v_add_f32_e32 v59, v59, v57
	v_fmac_f32_e32 v56, 0x3df6dbef, v38
	v_mov_b32_e32 v57, v149
	v_add_f32_e32 v56, v36, v56
	v_fmac_f32_e32 v57, 0xbf788fa5, v39
	v_mul_f32_e32 v150, 0x3f6f5d39, v127
	v_add_f32_e32 v56, v57, v56
	v_mov_b32_e32 v57, v150
	v_fmac_f32_e32 v57, 0xbeb58ec6, v43
	v_mul_f32_e32 v151, 0x3eedf032, v131
	v_add_f32_e32 v56, v57, v56
	v_mov_b32_e32 v57, v151
	;; [unrolled: 4-line block ×4, first 2 shown]
	v_fmac_f32_e32 v57, 0xbf3f9e67, v117
	v_mul_f32_e32 v155, 0xbf7e222b, v124
	v_add_f32_e32 v56, v57, v56
	v_fma_f32 v57, v40, s6, -v155
	v_mul_f32_e32 v156, 0xbe750f2a, v125
	v_add_f32_e32 v57, v37, v57
	v_fma_f32 v89, v41, s16, -v156
	;; [unrolled: 3-line block ×6, first 2 shown]
	v_mul_f32_e32 v161, 0xbf6f5d39, v120
	v_add_f32_e32 v57, v89, v57
	v_mov_b32_e32 v89, v161
	v_mul_f32_e32 v162, 0x3f29c268, v122
	v_fmac_f32_e32 v89, 0xbeb58ec6, v38
	v_mov_b32_e32 v90, v162
	v_add_f32_e32 v89, v36, v89
	v_fmac_f32_e32 v90, 0xbf3f9e67, v39
	v_mul_f32_e32 v165, 0xbf6f5d39, v124
	v_add_f32_e32 v89, v90, v89
	v_fma_f32 v90, v40, s7, -v165
	v_mul_f32_e32 v167, 0x3f29c268, v125
	v_add_f32_e32 v90, v37, v90
	v_fma_f32 v163, v41, s17, -v167
	v_add_f32_e32 v90, v163, v90
	v_mul_f32_e32 v163, 0x3eedf032, v127
	v_mov_b32_e32 v164, v163
	v_fmac_f32_e32 v164, 0x3f62ad3f, v43
	v_mul_f32_e32 v169, 0x3eedf032, v129
	v_add_f32_e32 v89, v164, v89
	v_fma_f32 v164, v54, s4, -v169
	v_add_f32_e32 v90, v164, v90
	v_mul_f32_e32 v164, 0xbf7e222b, v131
	v_mov_b32_e32 v166, v164
	v_fmac_f32_e32 v166, 0x3df6dbef, v55
	;; [unrolled: 7-line block ×4, first 2 shown]
	v_add_f32_e32 v89, v172, v89
	v_mul_f32_e32 v172, 0x3f52af12, v153
	v_fma_f32 v173, v119, s5, -v172
	v_add_f32_e32 v90, v173, v90
	s_and_saveexec_b64 s[0:1], vcc
	s_cbranch_execz .LBB0_5
; %bb.4:
	v_mul_f32_e32 v223, 0xbe750f2a, v124
	v_mov_b32_e32 v173, v223
	v_mul_f32_e32 v224, 0x3eedf032, v125
	v_fmac_f32_e32 v173, 0xbf788fa5, v40
	v_mov_b32_e32 v174, v224
	v_add_f32_e32 v173, v37, v173
	v_fmac_f32_e32 v174, 0x3f62ad3f, v41
	v_mul_f32_e32 v225, 0xbf29c268, v129
	v_add_f32_e32 v173, v174, v173
	v_mov_b32_e32 v174, v225
	v_fmac_f32_e32 v174, 0xbf3f9e67, v54
	v_mul_f32_e32 v226, 0x3f52af12, v135
	v_add_f32_e32 v173, v174, v173
	v_mov_b32_e32 v174, v226
	;; [unrolled: 4-line block ×4, first 2 shown]
	v_fmac_f32_e32 v174, 0x3df6dbef, v119
	v_mul_f32_e32 v229, 0xbe750f2a, v120
	v_add_f32_e32 v174, v174, v173
	v_fma_f32 v173, v38, s16, -v229
	v_mul_f32_e32 v230, 0x3eedf032, v122
	v_add_f32_e32 v173, v36, v173
	v_fma_f32 v231, v39, s4, -v230
	v_add_f32_e32 v173, v231, v173
	v_mul_f32_e32 v231, 0xbf29c268, v127
	v_fma_f32 v232, v43, s17, -v231
	v_add_f32_e32 v173, v232, v173
	v_mul_f32_e32 v232, 0x3f52af12, v131
	;; [unrolled: 3-line block ×5, first 2 shown]
	v_mov_b32_e32 v124, v235
	v_mul_f32_e32 v236, 0x3f7e222b, v125
	v_fmac_f32_e32 v124, 0xbf3f9e67, v40
	v_mov_b32_e32 v125, v236
	v_add_f32_e32 v124, v37, v124
	v_fmac_f32_e32 v125, 0x3df6dbef, v41
	v_mul_f32_e32 v129, 0xbf52af12, v129
	v_add_f32_e32 v124, v125, v124
	v_mov_b32_e32 v125, v129
	v_fmac_f32_e32 v125, 0x3f116cb1, v54
	v_mul_f32_e32 v237, 0x3e750f2a, v135
	v_add_f32_e32 v124, v125, v124
	v_mov_b32_e32 v125, v237
	;; [unrolled: 4-line block ×4, first 2 shown]
	v_fmac_f32_e32 v125, 0xbeb58ec6, v119
	v_mul_f32_e32 v120, 0xbf29c268, v120
	v_add_f32_e32 v125, v125, v124
	v_fma_f32 v124, v38, s17, -v120
	v_mul_f32_e32 v122, 0x3f7e222b, v122
	v_add_f32_e32 v124, v36, v124
	v_fma_f32 v135, v39, s6, -v122
	;; [unrolled: 3-line block ×4, first 2 shown]
	v_mul_f32_e32 v137, 0x3eedf032, v137
	v_add_f32_e32 v67, v37, v67
	v_add_f32_e32 v124, v135, v124
	v_fma_f32 v135, v61, s4, -v137
	v_mul_f32_e32 v240, 0xbf6f5d39, v147
	v_add_f32_e32 v67, v67, v98
	v_mul_f32_e32 v182, 0xbeb58ec6, v40
	v_add_f32_e32 v124, v135, v124
	v_fma_f32 v135, v117, s7, -v240
	v_add_f32_e32 v67, v67, v99
	v_mul_f32_e32 v190, 0xbf3f9e67, v41
	v_add_f32_e32 v124, v135, v124
	v_add_f32_e32 v135, v165, v182
	v_add_f32_e32 v67, v67, v100
	v_mul_f32_e32 v198, 0x3f62ad3f, v54
	v_add_f32_e32 v135, v37, v135
	v_add_f32_e32 v146, v167, v190
	;; [unrolled: 4-line block ×6, first 2 shown]
	v_add_f32_e32 v67, v67, v105
	v_mul_f32_e32 v189, 0xbf3f9e67, v39
	v_add_f32_e32 v147, v146, v135
	v_sub_f32_e32 v135, v181, v161
	v_add_f32_e32 v67, v67, v106
	v_mul_f32_e32 v197, 0x3f62ad3f, v43
	v_add_f32_e32 v135, v36, v135
	v_sub_f32_e32 v146, v189, v162
	;; [unrolled: 4-line block ×3, first 2 shown]
	v_add_f32_e32 v99, v67, v109
	v_add_f32_e32 v67, v36, v108
	v_mul_f32_e32 v213, 0xbf788fa5, v61
	v_add_f32_e32 v135, v146, v135
	v_sub_f32_e32 v146, v205, v164
	v_add_f32_e32 v48, v67, v48
	v_mul_f32_e32 v221, 0x3f116cb1, v117
	v_add_f32_e32 v135, v146, v135
	v_sub_f32_e32 v146, v213, v166
	;; [unrolled: 4-line block ×3, first 2 shown]
	v_add_f32_e32 v44, v48, v44
	v_mul_f32_e32 v188, 0xbf788fa5, v41
	v_add_f32_e32 v146, v146, v135
	v_add_f32_e32 v135, v155, v180
	v_add_f32_e32 v44, v44, v45
	v_mul_f32_e32 v196, 0xbeb58ec6, v54
	v_add_f32_e32 v135, v37, v135
	v_add_f32_e32 v153, v156, v188
	;; [unrolled: 4-line block ×6, first 2 shown]
	v_add_f32_e32 v42, v42, v51
	v_mul_f32_e32 v187, 0xbf788fa5, v39
	v_add_f32_e32 v153, v153, v135
	v_sub_f32_e32 v135, v179, v148
	v_add_f32_e32 v42, v42, v52
	v_mul_f32_e32 v195, 0xbeb58ec6, v43
	v_add_f32_e32 v135, v36, v135
	v_sub_f32_e32 v148, v187, v149
	v_add_f32_e32 v98, v42, v53
	v_fma_f32 v42, v40, s16, -v223
	v_mul_f32_e32 v203, 0x3f62ad3f, v55
	v_add_f32_e32 v135, v148, v135
	v_sub_f32_e32 v148, v195, v150
	v_add_f32_e32 v42, v37, v42
	v_fma_f32 v44, v41, s4, -v224
	;; [unrolled: 5-line block ×3, first 2 shown]
	v_mul_f32_e32 v175, 0x3f62ad3f, v38
	v_mul_f32_e32 v176, 0x3f62ad3f, v40
	;; [unrolled: 1-line block ×3, first 2 shown]
	v_add_f32_e32 v135, v148, v135
	v_sub_f32_e32 v148, v211, v152
	v_add_f32_e32 v42, v44, v42
	v_fma_f32 v44, v60, s5, -v226
	v_mul_f32_e32 v177, 0x3f116cb1, v38
	v_mul_f32_e32 v178, 0x3f116cb1, v40
	v_mul_f32_e32 v183, 0x3f116cb1, v39
	v_mul_f32_e32 v184, 0x3f116cb1, v41
	v_add_f32_e32 v135, v148, v135
	v_sub_f32_e32 v148, v219, v154
	v_add_f32_e32 v114, v114, v176
	v_sub_f32_e32 v110, v175, v110
	v_add_f32_e32 v42, v44, v42
	v_fma_f32 v44, v113, s7, -v227
	v_mul_f32_e32 v185, 0xbeb58ec6, v39
	v_mul_f32_e32 v186, 0xbeb58ec6, v41
	;; [unrolled: 1-line block ×4, first 2 shown]
	v_add_f32_e32 v152, v148, v135
	v_add_f32_e32 v135, v138, v178
	v_sub_f32_e32 v132, v177, v132
	v_add_f32_e32 v114, v37, v114
	v_add_f32_e32 v115, v115, v184
	;; [unrolled: 1-line block ×3, first 2 shown]
	v_sub_f32_e32 v111, v183, v111
	v_add_f32_e32 v42, v44, v42
	v_fma_f32 v44, v119, s6, -v228
	v_fmac_f32_e32 v229, 0xbf788fa5, v38
	v_fma_f32 v40, v40, s17, -v235
	v_fmac_f32_e32 v120, 0xbf3f9e67, v38
	v_mul_f32_e32 v193, 0xbf788fa5, v43
	v_mul_f32_e32 v194, 0xbf788fa5, v54
	;; [unrolled: 1-line block ×4, first 2 shown]
	v_add_f32_e32 v135, v37, v135
	v_add_f32_e32 v138, v140, v186
	;; [unrolled: 1-line block ×3, first 2 shown]
	v_sub_f32_e32 v133, v185, v133
	v_add_f32_e32 v114, v115, v114
	v_add_f32_e32 v115, v116, v192
	;; [unrolled: 1-line block ×3, first 2 shown]
	v_sub_f32_e32 v111, v191, v112
	v_add_f32_e32 v45, v44, v42
	v_add_f32_e32 v42, v36, v229
	v_fmac_f32_e32 v230, 0x3f62ad3f, v39
	v_add_f32_e32 v37, v37, v40
	v_fma_f32 v40, v41, s6, -v236
	v_add_f32_e32 v36, v36, v120
	v_fmac_f32_e32 v122, 0x3df6dbef, v39
	v_mul_f32_e32 v201, 0xbf3f9e67, v55
	v_mul_f32_e32 v202, 0xbf3f9e67, v60
	;; [unrolled: 1-line block ×4, first 2 shown]
	v_add_f32_e32 v135, v138, v135
	v_add_f32_e32 v138, v142, v194
	;; [unrolled: 1-line block ×3, first 2 shown]
	v_sub_f32_e32 v133, v193, v134
	v_add_f32_e32 v114, v115, v114
	v_add_f32_e32 v115, v121, v200
	;; [unrolled: 1-line block ×3, first 2 shown]
	v_sub_f32_e32 v111, v199, v118
	v_add_f32_e32 v42, v230, v42
	v_fmac_f32_e32 v231, 0xbf3f9e67, v43
	v_add_f32_e32 v37, v40, v37
	v_fma_f32 v40, v54, s5, -v129
	v_add_f32_e32 v36, v122, v36
	v_fmac_f32_e32 v127, 0x3f116cb1, v43
	v_mul_f32_e32 v209, 0x3df6dbef, v61
	v_mul_f32_e32 v210, 0x3df6dbef, v113
	;; [unrolled: 1-line block ×4, first 2 shown]
	v_add_f32_e32 v135, v138, v135
	v_add_f32_e32 v138, v143, v202
	v_add_f32_e32 v132, v133, v132
	v_sub_f32_e32 v133, v201, v136
	v_add_f32_e32 v114, v115, v114
	v_add_f32_e32 v115, v126, v208
	;; [unrolled: 1-line block ×3, first 2 shown]
	v_sub_f32_e32 v111, v207, v123
	v_add_f32_e32 v42, v231, v42
	v_fmac_f32_e32 v232, 0x3f116cb1, v55
	v_add_f32_e32 v37, v40, v37
	v_fma_f32 v40, v60, s16, -v237
	v_add_f32_e32 v36, v127, v36
	v_fmac_f32_e32 v131, 0xbf788fa5, v55
	v_mul_f32_e32 v217, 0x3f62ad3f, v117
	v_mul_f32_e32 v218, 0x3f62ad3f, v119
	v_add_f32_e32 v135, v138, v135
	v_add_f32_e32 v138, v144, v210
	;; [unrolled: 1-line block ×3, first 2 shown]
	v_sub_f32_e32 v133, v209, v139
	v_add_f32_e32 v114, v115, v114
	v_add_f32_e32 v115, v130, v216
	;; [unrolled: 1-line block ×3, first 2 shown]
	v_sub_f32_e32 v111, v215, v128
	v_add_f32_e32 v42, v232, v42
	v_fmac_f32_e32 v233, 0xbeb58ec6, v61
	v_add_f32_e32 v37, v40, v37
	v_fma_f32 v40, v113, s4, -v238
	v_add_f32_e32 v36, v131, v36
	v_fmac_f32_e32 v137, 0x3f62ad3f, v61
	v_mul_u32_u24_e32 v38, 0x75, v93
	v_add_f32_e32 v135, v138, v135
	v_add_f32_e32 v138, v145, v218
	;; [unrolled: 1-line block ×3, first 2 shown]
	v_sub_f32_e32 v133, v217, v141
	v_add_f32_e32 v115, v115, v114
	v_add_f32_e32 v114, v111, v110
	v_add_f32_e32 v42, v233, v42
	v_fmac_f32_e32 v234, 0x3df6dbef, v117
	v_add_f32_e32 v37, v40, v37
	v_fma_f32 v40, v119, s7, -v239
	v_add_f32_e32 v36, v137, v36
	v_fmac_f32_e32 v240, 0xbeb58ec6, v117
	v_add_lshl_u32 v38, v38, v94, 3
	v_add_f32_e32 v135, v138, v135
	v_add_f32_e32 v134, v133, v132
	v_add_f32_e32 v44, v234, v42
	v_add_f32_e32 v37, v40, v37
	v_add_f32_e32 v36, v240, v36
	ds_write2_b64 v38, v[98:99], v[114:115] offset1:9
	ds_write2_b64 v38, v[134:135], v[152:153] offset0:18 offset1:27
	ds_write2_b64 v38, v[146:147], v[124:125] offset0:36 offset1:45
	ds_write2_b64 v38, v[173:174], v[44:45] offset0:54 offset1:63
	ds_write2_b64 v38, v[36:37], v[89:90] offset0:72 offset1:81
	ds_write2_b64 v38, v[56:57], v[58:59] offset0:90 offset1:99
	ds_write_b64 v38, v[87:88] offset:864
.LBB0_5:
	s_or_b64 exec, exec, s[0:1]
	s_mov_b32 s0, 0x8c09
	v_mul_u32_u24_sdwa v40, v66, s0 dst_sel:DWORD dst_unused:UNUSED_PAD src0_sel:WORD_0 src1_sel:DWORD
	v_lshlrev_b32_e32 v61, 4, v92
	v_lshrrev_b32_e32 v40, 22, v40
	s_waitcnt lgkmcnt(0)
	s_barrier
	global_load_dwordx4 v[36:39], v61, s[14:15] offset:912
	v_mul_lo_u16_e32 v40, 0x75, v40
	v_sub_u16_e32 v67, v66, v40
	v_lshlrev_b16_e32 v40, 4, v67
	v_mov_b32_e32 v41, s15
	v_add_co_u32_e64 v40, s[0:1], s14, v40
	v_addc_co_u32_e64 v41, s[0:1], 0, v41, s[0:1]
	global_load_dwordx4 v[40:43], v[40:41], off offset:912
	v_add_u32_e32 v60, 0x400, v91
	ds_read2_b64 v[48:51], v60 offset0:106 offset1:223
	v_add_u32_e32 v100, 0x1400, v91
	ds_read2_b64 v[44:47], v91 offset1:117
	v_add_u32_e32 v99, 0xc00, v91
	ds_read2_b64 v[52:55], v100 offset0:62 offset1:179
	ds_read_b64 v[105:106], v91 offset:7488
	ds_read2_b64 v[101:104], v99 offset0:84 offset1:201
	s_waitcnt vmcnt(0) lgkmcnt(0)
	s_barrier
	s_movk_i32 s4, 0x20e8
	v_mul_f32_e32 v98, v51, v37
	v_mul_f32_e32 v107, v50, v37
	;; [unrolled: 1-line block ×5, first 2 shown]
	v_fma_f32 v50, v50, v36, -v98
	v_fmac_f32_e32 v107, v51, v36
	v_fma_f32 v51, v52, v38, -v108
	v_mul_f32_e32 v110, v102, v37
	v_mul_f32_e32 v111, v101, v37
	;; [unrolled: 1-line block ×3, first 2 shown]
	v_fmac_f32_e32 v109, v53, v38
	v_fmac_f32_e32 v113, v55, v38
	v_add_f32_e32 v55, v50, v51
	v_fma_f32 v52, v101, v36, -v110
	v_fmac_f32_e32 v111, v102, v36
	v_fma_f32 v53, v54, v38, -v112
	v_add_f32_e32 v54, v44, v50
	v_add_f32_e32 v102, v107, v109
	v_fma_f32 v44, -0.5, v55, v44
	v_sub_f32_e32 v98, v107, v109
	v_add_f32_e32 v101, v45, v107
	v_sub_f32_e32 v107, v50, v51
	v_add_f32_e32 v108, v46, v52
	v_add_f32_e32 v50, v54, v51
	v_fma_f32 v45, -0.5, v102, v45
	v_mov_b32_e32 v54, v44
	v_add_f32_e32 v110, v52, v53
	v_sub_f32_e32 v115, v52, v53
	v_add_f32_e32 v52, v108, v53
	v_fmac_f32_e32 v44, 0xbf5db3d7, v98
	v_mov_b32_e32 v55, v45
	v_fmac_f32_e32 v54, 0x3f5db3d7, v98
	v_mul_f32_e32 v98, v104, v41
	v_mul_f32_e32 v108, v106, v43
	v_add_f32_e32 v51, v101, v109
	v_fmac_f32_e32 v45, 0x3f5db3d7, v107
	v_fmac_f32_e32 v55, 0xbf5db3d7, v107
	v_mul_f32_e32 v107, v103, v41
	v_mul_f32_e32 v109, v105, v43
	v_fma_f32 v98, v103, v40, -v98
	v_fma_f32 v108, v105, v42, -v108
	v_fmac_f32_e32 v107, v104, v40
	v_fmac_f32_e32 v109, v106, v42
	v_add_f32_e32 v104, v98, v108
	v_add_f32_e32 v103, v48, v98
	v_sub_f32_e32 v106, v107, v109
	v_add_f32_e32 v105, v49, v107
	v_add_f32_e32 v107, v107, v109
	v_fma_f32 v48, -0.5, v104, v48
	v_sub_f32_e32 v112, v111, v113
	v_add_f32_e32 v114, v47, v111
	v_add_f32_e32 v111, v111, v113
	;; [unrolled: 1-line block ×3, first 2 shown]
	v_fmac_f32_e32 v49, -0.5, v107
	v_mov_b32_e32 v105, v48
	v_fma_f32 v46, -0.5, v110, v46
	v_fmac_f32_e32 v47, -0.5, v111
	v_fmac_f32_e32 v48, 0xbf5db3d7, v106
	v_fmac_f32_e32 v105, 0x3f5db3d7, v106
	v_sub_f32_e32 v98, v98, v108
	v_mov_b32_e32 v106, v49
	v_mov_b32_e32 v101, v46
	;; [unrolled: 1-line block ×3, first 2 shown]
	v_fmac_f32_e32 v106, 0xbf5db3d7, v98
	v_fmac_f32_e32 v49, 0x3f5db3d7, v98
	v_lshlrev_b32_e32 v98, 3, v67
	v_add_f32_e32 v53, v114, v113
	v_fmac_f32_e32 v46, 0xbf5db3d7, v112
	v_fmac_f32_e32 v47, 0x3f5db3d7, v115
	v_fmac_f32_e32 v101, 0x3f5db3d7, v112
	v_fmac_f32_e32 v102, 0xbf5db3d7, v115
	v_add_f32_e32 v103, v103, v108
	ds_write2_b64 v91, v[50:51], v[54:55] offset1:117
	ds_write2_b64 v60, v[44:45], v[52:53] offset0:106 offset1:223
	ds_write2_b64 v99, v[101:102], v[46:47] offset0:84 offset1:201
	v_add_u32_e32 v44, 0x1400, v98
	ds_write2_b64 v44, v[103:104], v[105:106] offset0:62 offset1:179
	ds_write_b64 v98, v[48:49] offset:7488
	s_waitcnt lgkmcnt(0)
	s_barrier
	global_load_dwordx4 v[44:47], v61, s[14:15] offset:2784
	v_lshlrev_b32_e32 v48, 4, v65
	global_load_dwordx4 v[48:51], v48, s[14:15] offset:2784
	v_lshlrev_b32_e32 v52, 4, v66
	;; [unrolled: 2-line block ×3, first 2 shown]
	v_mov_b32_e32 v65, s13
	v_add_co_u32_e64 v61, s[0:1], s12, v61
	v_addc_co_u32_e64 v67, s[0:1], 0, v65, s[0:1]
	ds_read2_b64 v[102:105], v60 offset0:106 offset1:223
	ds_read2_b64 v[106:109], v91 offset1:117
	ds_read2_b64 v[110:113], v100 offset0:62 offset1:179
	ds_read2_b64 v[114:117], v99 offset0:84 offset1:201
	ds_read_b64 v[65:66], v91 offset:7488
	s_movk_i32 s0, 0x2000
	s_waitcnt vmcnt(2) lgkmcnt(4)
	v_mul_f32_e32 v118, v104, v45
	s_waitcnt lgkmcnt(2)
	v_mul_f32_e32 v120, v110, v47
	v_mul_f32_e32 v101, v105, v45
	;; [unrolled: 1-line block ×3, first 2 shown]
	s_waitcnt vmcnt(1) lgkmcnt(1)
	v_mul_f32_e32 v121, v115, v49
	v_mul_f32_e32 v122, v114, v49
	v_mul_f32_e32 v123, v113, v51
	v_mul_f32_e32 v124, v112, v51
	v_fmac_f32_e32 v118, v105, v44
	v_fmac_f32_e32 v120, v111, v46
	s_waitcnt vmcnt(0)
	v_mul_f32_e32 v125, v117, v53
	v_mul_f32_e32 v126, v116, v53
	s_waitcnt lgkmcnt(0)
	v_mul_f32_e32 v127, v66, v55
	v_mul_f32_e32 v128, v65, v55
	v_fma_f32 v101, v104, v44, -v101
	v_fma_f32 v104, v110, v46, -v119
	;; [unrolled: 1-line block ×3, first 2 shown]
	v_fmac_f32_e32 v122, v115, v48
	v_fma_f32 v110, v112, v50, -v123
	v_fmac_f32_e32 v124, v113, v50
	v_add_f32_e32 v112, v118, v120
	v_fma_f32 v119, v116, v52, -v125
	v_fmac_f32_e32 v126, v117, v52
	v_fma_f32 v117, v65, v54, -v127
	v_fmac_f32_e32 v128, v66, v54
	v_add_f32_e32 v65, v106, v101
	v_add_f32_e32 v66, v101, v104
	v_sub_f32_e32 v113, v118, v120
	v_add_f32_e32 v111, v107, v118
	v_add_f32_e32 v114, v108, v105
	;; [unrolled: 1-line block ×3, first 2 shown]
	v_sub_f32_e32 v116, v122, v124
	v_add_f32_e32 v118, v109, v122
	v_add_f32_e32 v121, v122, v124
	v_sub_f32_e32 v122, v105, v110
	v_fma_f32 v105, -0.5, v112, v107
	v_sub_f32_e32 v101, v101, v104
	v_add_f32_e32 v65, v65, v104
	v_fma_f32 v104, -0.5, v66, v106
	v_add_f32_e32 v66, v111, v120
	v_mov_b32_e32 v111, v105
	v_fmac_f32_e32 v105, 0x3f5db3d7, v101
	v_fmac_f32_e32 v111, 0xbf5db3d7, v101
	v_add_f32_e32 v101, v102, v119
	v_add_f32_e32 v106, v114, v110
	v_fma_f32 v108, -0.5, v115, v108
	v_add_f32_e32 v114, v101, v117
	v_add_f32_e32 v101, v119, v117
	v_mov_b32_e32 v112, v108
	v_fma_f32 v102, -0.5, v101, v102
	v_fmac_f32_e32 v108, 0xbf5db3d7, v116
	v_fmac_f32_e32 v112, 0x3f5db3d7, v116
	v_sub_f32_e32 v101, v126, v128
	v_mov_b32_e32 v116, v102
	v_fmac_f32_e32 v116, 0x3f5db3d7, v101
	v_fmac_f32_e32 v102, 0xbf5db3d7, v101
	v_add_f32_e32 v101, v103, v126
	v_add_f32_e32 v115, v101, v128
	v_add_f32_e32 v101, v126, v128
	v_fmac_f32_e32 v109, -0.5, v121
	v_mov_b32_e32 v110, v104
	v_fmac_f32_e32 v103, -0.5, v101
	v_fmac_f32_e32 v104, 0xbf5db3d7, v113
	v_fmac_f32_e32 v110, 0x3f5db3d7, v113
	v_mov_b32_e32 v113, v109
	v_sub_f32_e32 v101, v119, v117
	v_mov_b32_e32 v117, v103
	v_add_f32_e32 v107, v118, v124
	v_fmac_f32_e32 v113, 0xbf5db3d7, v122
	v_fmac_f32_e32 v117, 0xbf5db3d7, v101
	ds_write_b64 v91, v[110:111] offset:2808
	ds_write_b64 v91, v[104:105] offset:5616
	ds_write2_b64 v91, v[65:66], v[106:107] offset1:117
	ds_write_b64 v91, v[114:115] offset:1872
	ds_write2_b64 v99, v[112:113], v[116:117] offset0:84 offset1:201
	v_add_co_u32_e64 v65, s[0:1], s0, v61
	v_fmac_f32_e32 v109, 0x3f5db3d7, v122
	v_fmac_f32_e32 v103, 0x3f5db3d7, v101
	v_add_u32_e32 v101, 0x1800, v91
	v_addc_co_u32_e64 v66, s[0:1], 0, v67, s[0:1]
	ds_write2_b64 v101, v[108:109], v[102:103] offset0:51 offset1:168
	s_waitcnt lgkmcnt(0)
	s_barrier
	global_load_dwordx2 v[65:66], v[65:66], off offset:232
	v_add_co_u32_e64 v102, s[0:1], s4, v61
	v_addc_co_u32_e64 v103, s[0:1], 0, v67, s[0:1]
	global_load_dwordx2 v[115:116], v[102:103], off offset:936
	global_load_dwordx2 v[117:118], v[102:103], off offset:2808
	s_movk_i32 s0, 0x3000
	v_add_co_u32_e64 v104, s[0:1], s0, v61
	v_addc_co_u32_e64 v105, s[0:1], 0, v67, s[0:1]
	global_load_dwordx2 v[119:120], v[104:105], off offset:1752
	global_load_dwordx2 v[121:122], v[102:103], off offset:3744
	;; [unrolled: 1-line block ×6, first 2 shown]
	ds_read2_b64 v[103:106], v91 offset1:117
	v_add_u32_e32 v102, 0x800, v91
	s_waitcnt vmcnt(8) lgkmcnt(0)
	v_mul_f32_e32 v61, v104, v66
	v_mul_f32_e32 v67, v103, v66
	v_fma_f32 v66, v103, v65, -v61
	v_fmac_f32_e32 v67, v104, v65
	s_waitcnt vmcnt(7)
	v_mul_f32_e32 v111, v106, v116
	v_mul_f32_e32 v132, v105, v116
	ds_write_b64 v91, v[66:67]
	ds_read2_b64 v[107:110], v60 offset0:106 offset1:223
	v_fma_f32 v131, v105, v115, -v111
	v_fmac_f32_e32 v132, v106, v115
	ds_read2_b64 v[103:106], v99 offset0:84 offset1:201
	ds_read2_b64 v[111:114], v100 offset0:62 offset1:179
	s_waitcnt vmcnt(6) lgkmcnt(2)
	v_mul_f32_e32 v61, v110, v118
	v_mul_f32_e32 v66, v109, v118
	v_fma_f32 v65, v109, v117, -v61
	s_waitcnt vmcnt(4) lgkmcnt(1)
	v_mul_f32_e32 v133, v104, v122
	v_mul_f32_e32 v118, v103, v122
	s_waitcnt lgkmcnt(0)
	v_mul_f32_e32 v67, v112, v120
	v_mul_f32_e32 v116, v111, v120
	s_waitcnt vmcnt(3)
	v_mul_f32_e32 v134, v114, v124
	v_mul_f32_e32 v120, v113, v124
	s_waitcnt vmcnt(2)
	v_mul_f32_e32 v124, v108, v126
	v_mul_f32_e32 v122, v107, v126
	v_fmac_f32_e32 v66, v110, v117
	v_fma_f32 v117, v103, v121, -v133
	v_fmac_f32_e32 v118, v104, v121
	v_fma_f32 v121, v107, v125, -v124
	v_fmac_f32_e32 v122, v108, v125
	ds_write2_b64 v102, v[65:66], v[117:118] offset0:95 offset1:212
	ds_write2_b64 v91, v[131:132], v[121:122] offset0:117 offset1:234
	ds_read_b64 v[65:66], v91 offset:7488
	s_waitcnt vmcnt(1)
	v_mul_f32_e32 v126, v106, v128
	v_fma_f32 v104, v105, v127, -v126
	v_mul_f32_e32 v105, v105, v128
	v_fma_f32 v115, v111, v119, -v67
	v_fmac_f32_e32 v116, v112, v119
	v_fmac_f32_e32 v105, v106, v127
	v_add_u32_e32 v103, 0x1000, v91
	ds_write2_b64 v103, v[104:105], v[115:116] offset0:73 offset1:190
	s_waitcnt vmcnt(0) lgkmcnt(1)
	v_mul_f32_e32 v61, v66, v130
	v_mul_f32_e32 v105, v65, v130
	v_fma_f32 v119, v113, v123, -v134
	v_fmac_f32_e32 v120, v114, v123
	v_fma_f32 v104, v65, v129, -v61
	v_fmac_f32_e32 v105, v66, v129
	ds_write2_b64 v101, v[119:120], v[104:105] offset0:51 offset1:168
	s_waitcnt lgkmcnt(0)
	s_barrier
	ds_read2_b64 v[104:107], v91 offset1:117
	ds_read2_b64 v[108:111], v60 offset0:106 offset1:223
	ds_read2_b64 v[112:115], v100 offset0:62 offset1:179
	;; [unrolled: 1-line block ×3, first 2 shown]
	ds_read_b64 v[65:66], v91 offset:7488
	s_waitcnt lgkmcnt(0)
	v_add_f32_e32 v61, v104, v110
	v_add_f32_e32 v120, v61, v112
	v_add_f32_e32 v61, v110, v112
	v_fma_f32 v104, -0.5, v61, v104
	v_sub_f32_e32 v61, v111, v113
	v_mov_b32_e32 v122, v104
	v_fmac_f32_e32 v122, 0xbf5db3d7, v61
	v_fmac_f32_e32 v104, 0x3f5db3d7, v61
	v_add_f32_e32 v61, v105, v111
	v_add_f32_e32 v121, v61, v113
	v_add_f32_e32 v61, v111, v113
	v_fma_f32 v105, -0.5, v61, v105
	v_sub_f32_e32 v61, v110, v112
	v_mov_b32_e32 v123, v105
	v_fmac_f32_e32 v123, 0x3f5db3d7, v61
	v_fmac_f32_e32 v105, 0xbf5db3d7, v61
	;; [unrolled: 8-line block ×3, first 2 shown]
	v_add_f32_e32 v61, v107, v117
	v_add_f32_e32 v111, v61, v115
	;; [unrolled: 1-line block ×3, first 2 shown]
	v_fmac_f32_e32 v107, -0.5, v61
	v_sub_f32_e32 v61, v116, v114
	v_mov_b32_e32 v113, v107
	v_fmac_f32_e32 v113, 0x3f5db3d7, v61
	v_fmac_f32_e32 v107, 0xbf5db3d7, v61
	v_add_f32_e32 v61, v108, v118
	v_add_f32_e32 v114, v61, v65
	;; [unrolled: 1-line block ×3, first 2 shown]
	v_fma_f32 v108, -0.5, v61, v108
	v_sub_f32_e32 v61, v119, v66
	v_mov_b32_e32 v116, v108
	v_fmac_f32_e32 v116, 0xbf5db3d7, v61
	v_fmac_f32_e32 v108, 0x3f5db3d7, v61
	v_add_f32_e32 v61, v109, v119
	v_add_f32_e32 v115, v61, v66
	v_add_f32_e32 v61, v119, v66
	v_fmac_f32_e32 v109, -0.5, v61
	v_sub_f32_e32 v61, v118, v65
	v_mov_b32_e32 v117, v109
	v_fmac_f32_e32 v109, 0xbf5db3d7, v61
	v_fmac_f32_e32 v117, 0x3f5db3d7, v61
	s_barrier
	ds_write2_b64 v62, v[120:121], v[122:123] offset1:1
	ds_write_b64 v62, v[104:105] offset:16
	ds_write2_b64 v63, v[110:111], v[112:113] offset1:1
	ds_write_b64 v63, v[106:107] offset:16
	;; [unrolled: 2-line block ×3, first 2 shown]
	s_waitcnt lgkmcnt(0)
	s_barrier
	ds_read2_b64 v[64:67], v60 offset0:106 offset1:223
	ds_read2_b64 v[60:63], v91 offset1:117
	ds_read2_b64 v[104:107], v100 offset0:62 offset1:179
	ds_read2_b64 v[108:111], v99 offset0:84 offset1:201
	ds_read_b64 v[112:113], v91 offset:7488
	s_waitcnt lgkmcnt(4)
	v_mul_f32_e32 v100, v13, v67
	v_mul_f32_e32 v13, v13, v66
	v_fmac_f32_e32 v100, v12, v66
	v_fma_f32 v12, v12, v67, -v13
	s_waitcnt lgkmcnt(2)
	v_mul_f32_e32 v13, v15, v105
	v_mul_f32_e32 v15, v15, v104
	v_fmac_f32_e32 v13, v14, v104
	v_fma_f32 v14, v14, v105, -v15
	;; [unrolled: 5-line block ×3, first 2 shown]
	v_mul_f32_e32 v8, v11, v106
	v_mul_f32_e32 v67, v11, v107
	v_fma_f32 v104, v10, v107, -v8
	v_mul_f32_e32 v105, v17, v111
	v_mul_f32_e32 v8, v17, v110
	v_add_f32_e32 v9, v100, v13
	v_fmac_f32_e32 v67, v10, v106
	v_fmac_f32_e32 v105, v16, v110
	v_fma_f32 v106, v16, v111, -v8
	v_fma_f32 v16, -0.5, v9, v60
	v_add_f32_e32 v11, v12, v14
	v_sub_f32_e32 v9, v12, v14
	v_mov_b32_e32 v10, v16
	v_fma_f32 v17, -0.5, v11, v61
	v_fmac_f32_e32 v10, 0xbf5db3d7, v9
	v_fmac_f32_e32 v16, 0x3f5db3d7, v9
	v_add_f32_e32 v9, v61, v12
	v_sub_f32_e32 v12, v100, v13
	v_mov_b32_e32 v11, v17
	s_waitcnt lgkmcnt(0)
	v_mul_f32_e32 v107, v19, v113
	v_mul_f32_e32 v8, v19, v112
	v_fmac_f32_e32 v11, 0x3f5db3d7, v12
	v_fmac_f32_e32 v17, 0xbf5db3d7, v12
	v_add_f32_e32 v12, v62, v15
	v_fmac_f32_e32 v107, v18, v112
	v_fma_f32 v108, v18, v113, -v8
	v_add_f32_e32 v18, v12, v67
	v_add_f32_e32 v12, v15, v67
	v_fma_f32 v62, -0.5, v12, v62
	v_add_f32_e32 v8, v60, v100
	v_sub_f32_e32 v12, v66, v104
	v_mov_b32_e32 v60, v62
	v_fmac_f32_e32 v60, 0xbf5db3d7, v12
	v_fmac_f32_e32 v62, 0x3f5db3d7, v12
	v_add_f32_e32 v12, v63, v66
	v_add_f32_e32 v19, v12, v104
	;; [unrolled: 1-line block ×3, first 2 shown]
	v_fmac_f32_e32 v63, -0.5, v12
	v_add_f32_e32 v8, v8, v13
	v_sub_f32_e32 v12, v15, v67
	v_mov_b32_e32 v61, v63
	v_add_f32_e32 v13, v105, v107
	v_fmac_f32_e32 v61, 0x3f5db3d7, v12
	v_fmac_f32_e32 v63, 0xbf5db3d7, v12
	v_add_f32_e32 v12, v64, v105
	v_fma_f32 v64, -0.5, v13, v64
	v_add_f32_e32 v9, v9, v14
	v_sub_f32_e32 v13, v106, v108
	v_mov_b32_e32 v14, v64
	v_add_f32_e32 v15, v106, v108
	v_fmac_f32_e32 v14, 0xbf5db3d7, v13
	v_fmac_f32_e32 v64, 0x3f5db3d7, v13
	v_add_f32_e32 v13, v65, v106
	v_fmac_f32_e32 v65, -0.5, v15
	v_sub_f32_e32 v66, v105, v107
	v_mov_b32_e32 v15, v65
	v_add_f32_e32 v12, v12, v107
	v_add_f32_e32 v13, v13, v108
	v_fmac_f32_e32 v15, 0x3f5db3d7, v66
	v_fmac_f32_e32 v65, 0xbf5db3d7, v66
	s_barrier
	ds_write2_b64 v95, v[8:9], v[10:11] offset1:3
	ds_write_b64 v95, v[16:17] offset:48
	ds_write2_b64 v96, v[18:19], v[60:61] offset1:3
	ds_write_b64 v96, v[62:63] offset:48
	;; [unrolled: 2-line block ×3, first 2 shown]
	s_waitcnt lgkmcnt(0)
	s_barrier
	s_and_saveexec_b64 s[0:1], vcc
	s_cbranch_execz .LBB0_7
; %bb.6:
	ds_read2_b64 v[8:11], v91 offset1:81
	ds_read2_b64 v[16:19], v91 offset0:162 offset1:243
	ds_read2_b64 v[60:63], v102 offset0:68 offset1:149
	;; [unrolled: 1-line block ×5, first 2 shown]
	ds_read_b64 v[87:88], v91 offset:7776
	s_waitcnt lgkmcnt(2)
	v_mov_b32_e32 v89, v66
	v_mov_b32_e32 v90, v67
.LBB0_7:
	s_or_b64 exec, exec, s[0:1]
	s_waitcnt lgkmcnt(0)
	s_barrier
	s_and_saveexec_b64 s[0:1], vcc
	s_cbranch_execz .LBB0_9
; %bb.8:
	v_mul_f32_e32 v66, v35, v87
	v_mul_f32_e32 v67, v25, v10
	v_fma_f32 v66, v34, v88, -v66
	v_fma_f32 v67, v24, v11, -v67
	v_mul_f32_e32 v25, v25, v11
	v_add_f32_e32 v95, v66, v67
	v_fmac_f32_e32 v25, v24, v10
	v_mul_f32_e32 v24, v35, v88
	v_mul_f32_e32 v96, 0xbf788fa5, v95
	v_fmac_f32_e32 v24, v34, v87
	v_sub_f32_e32 v10, v25, v24
	v_mov_b32_e32 v11, v96
	v_fmac_f32_e32 v11, 0x3e750f2a, v10
	v_add_f32_e32 v34, v9, v11
	v_mul_f32_e32 v11, v33, v58
	v_fma_f32 v35, v32, v59, -v11
	v_mul_f32_e32 v11, v27, v16
	v_fma_f32 v87, v26, v17, -v11
	v_mul_f32_e32 v27, v27, v17
	v_add_f32_e32 v88, v35, v87
	v_fmac_f32_e32 v27, v26, v16
	v_mul_f32_e32 v16, v33, v59
	v_mul_f32_e32 v97, 0x3f62ad3f, v88
	v_fmac_f32_e32 v16, v32, v58
	v_mul_f32_e32 v26, v31, v56
	v_mul_f32_e32 v32, v21, v18
	v_sub_f32_e32 v11, v27, v16
	v_mov_b32_e32 v17, v97
	v_fma_f32 v26, v30, v57, -v26
	v_fma_f32 v32, v20, v19, -v32
	v_mul_f32_e32 v19, v21, v19
	v_fmac_f32_e32 v17, 0xbeedf032, v11
	v_add_f32_e32 v33, v26, v32
	v_fmac_f32_e32 v19, v20, v18
	v_mul_f32_e32 v18, v31, v57
	v_add_f32_e32 v17, v17, v34
	v_mul_f32_e32 v34, 0xbf3f9e67, v33
	v_fmac_f32_e32 v18, v30, v56
	v_sub_f32_e32 v30, v19, v18
	v_mov_b32_e32 v20, v34
	v_fmac_f32_e32 v20, 0x3f29c268, v30
	v_add_f32_e32 v17, v20, v17
	v_mul_f32_e32 v20, v29, v89
	v_mul_f32_e32 v21, v23, v60
	v_fma_f32 v20, v28, v90, -v20
	v_fma_f32 v21, v22, v61, -v21
	v_mul_f32_e32 v23, v23, v61
	v_add_f32_e32 v31, v20, v21
	v_fmac_f32_e32 v23, v22, v60
	v_mul_f32_e32 v22, v29, v90
	v_mul_f32_e32 v56, 0x3f116cb1, v31
	v_fmac_f32_e32 v22, v28, v89
	v_sub_f32_e32 v28, v23, v22
	v_mov_b32_e32 v29, v56
	v_fmac_f32_e32 v29, 0xbf52af12, v28
	v_add_f32_e32 v17, v29, v17
	v_mul_f32_e32 v29, v3, v64
	v_mul_f32_e32 v57, v5, v62
	v_fma_f32 v29, v2, v65, -v29
	v_fma_f32 v57, v4, v63, -v57
	v_add_f32_e32 v58, v29, v57
	v_mul_f32_e32 v60, v5, v63
	v_mul_f32_e32 v61, v3, v65
	;; [unrolled: 1-line block ×3, first 2 shown]
	v_fmac_f32_e32 v60, v4, v62
	v_fmac_f32_e32 v61, v2, v64
	v_sub_f32_e32 v62, v60, v61
	v_mov_b32_e32 v2, v59
	v_fmac_f32_e32 v2, 0x3f6f5d39, v62
	v_mul_f32_e32 v3, v1, v14
	v_add_f32_e32 v2, v2, v17
	v_fma_f32 v17, v0, v15, -v3
	v_mul_f32_e32 v3, v7, v12
	v_fma_f32 v63, v6, v13, -v3
	v_add_f32_e32 v64, v17, v63
	v_mul_f32_e32 v89, v7, v13
	v_mul_f32_e32 v90, v1, v15
	;; [unrolled: 1-line block ×3, first 2 shown]
	v_fmac_f32_e32 v89, v6, v12
	v_fmac_f32_e32 v90, v0, v14
	v_sub_f32_e32 v99, v89, v90
	v_mov_b32_e32 v0, v65
	v_sub_f32_e32 v14, v67, v66
	v_fmac_f32_e32 v0, 0xbf7e222b, v99
	v_mul_f32_e32 v101, 0xbe750f2a, v14
	v_sub_f32_e32 v103, v87, v35
	v_add_f32_e32 v1, v0, v2
	v_add_f32_e32 v100, v24, v25
	v_mov_b32_e32 v0, v101
	v_mul_f32_e32 v104, 0x3eedf032, v103
	v_fmac_f32_e32 v0, 0xbf788fa5, v100
	v_add_f32_e32 v102, v16, v27
	v_mov_b32_e32 v2, v104
	v_sub_f32_e32 v106, v32, v26
	v_add_f32_e32 v0, v8, v0
	v_fmac_f32_e32 v2, 0x3f62ad3f, v102
	v_mul_f32_e32 v107, 0xbf29c268, v106
	v_add_f32_e32 v0, v2, v0
	v_add_f32_e32 v105, v18, v19
	v_mov_b32_e32 v2, v107
	v_sub_f32_e32 v109, v21, v20
	v_fmac_f32_e32 v2, 0xbf3f9e67, v105
	v_mul_f32_e32 v110, 0x3f52af12, v109
	v_add_f32_e32 v0, v2, v0
	v_add_f32_e32 v108, v22, v23
	v_mov_b32_e32 v2, v110
	v_sub_f32_e32 v112, v57, v29
	;; [unrolled: 6-line block ×3, first 2 shown]
	v_fmac_f32_e32 v2, 0xbeb58ec6, v111
	v_mul_f32_e32 v116, 0x3f7e222b, v115
	v_add_f32_e32 v0, v2, v0
	v_add_f32_e32 v114, v90, v89
	v_mov_b32_e32 v2, v116
	v_fmac_f32_e32 v2, 0x3df6dbef, v114
	v_mul_f32_e32 v117, 0xbf3f9e67, v95
	v_add_f32_e32 v0, v2, v0
	v_mov_b32_e32 v2, v117
	v_mul_f32_e32 v118, 0x3df6dbef, v88
	v_fmac_f32_e32 v2, 0x3f29c268, v10
	v_mov_b32_e32 v3, v118
	v_add_f32_e32 v2, v9, v2
	v_fmac_f32_e32 v3, 0xbf7e222b, v11
	v_mul_f32_e32 v119, 0x3f116cb1, v33
	v_add_f32_e32 v2, v3, v2
	v_mov_b32_e32 v3, v119
	v_fmac_f32_e32 v3, 0x3f52af12, v30
	v_mul_f32_e32 v120, 0xbf788fa5, v31
	v_add_f32_e32 v2, v3, v2
	v_mov_b32_e32 v3, v120
	v_fmac_f32_e32 v3, 0xbe750f2a, v28
	v_mul_f32_e32 v121, 0x3f62ad3f, v58
	v_add_f32_e32 v2, v3, v2
	v_mov_b32_e32 v3, v121
	v_fmac_f32_e32 v3, 0xbeedf032, v62
	v_mul_f32_e32 v122, 0xbeb58ec6, v64
	v_add_f32_e32 v2, v3, v2
	v_mov_b32_e32 v3, v122
	v_fmac_f32_e32 v3, 0x3f6f5d39, v99
	v_mul_f32_e32 v123, 0xbf29c268, v14
	v_add_f32_e32 v3, v3, v2
	v_mov_b32_e32 v2, v123
	v_mul_f32_e32 v124, 0x3f7e222b, v103
	v_fmac_f32_e32 v2, 0xbf3f9e67, v100
	v_mov_b32_e32 v4, v124
	v_add_f32_e32 v2, v8, v2
	v_fmac_f32_e32 v4, 0x3df6dbef, v102
	v_mul_f32_e32 v125, 0xbf52af12, v106
	v_add_f32_e32 v2, v4, v2
	v_mov_b32_e32 v4, v125
	v_fmac_f32_e32 v4, 0x3f116cb1, v105
	v_mul_f32_e32 v126, 0x3e750f2a, v109
	v_add_f32_e32 v2, v4, v2
	v_mov_b32_e32 v4, v126
	v_fmac_f32_e32 v4, 0xbf788fa5, v108
	v_mul_f32_e32 v127, 0x3eedf032, v112
	v_add_f32_e32 v2, v4, v2
	v_mov_b32_e32 v4, v127
	v_fmac_f32_e32 v4, 0x3f62ad3f, v111
	v_mul_f32_e32 v128, 0xbf6f5d39, v115
	v_add_f32_e32 v2, v4, v2
	v_mov_b32_e32 v4, v128
	v_fmac_f32_e32 v4, 0xbeb58ec6, v114
	v_mul_f32_e32 v129, 0xbeb58ec6, v95
	v_add_f32_e32 v2, v4, v2
	v_mov_b32_e32 v4, v129
	v_mul_f32_e32 v130, 0xbf3f9e67, v88
	v_fmac_f32_e32 v4, 0x3f6f5d39, v10
	v_mov_b32_e32 v5, v130
	v_add_f32_e32 v4, v9, v4
	v_fmac_f32_e32 v5, 0xbf29c268, v11
	v_mul_f32_e32 v131, 0x3f62ad3f, v33
	v_add_f32_e32 v4, v5, v4
	v_mov_b32_e32 v5, v131
	v_fmac_f32_e32 v5, 0xbeedf032, v30
	v_mul_f32_e32 v132, 0x3df6dbef, v31
	v_add_f32_e32 v4, v5, v4
	v_mov_b32_e32 v5, v132
	v_fmac_f32_e32 v5, 0x3f7e222b, v28
	v_mul_f32_e32 v133, 0xbf788fa5, v58
	v_add_f32_e32 v4, v5, v4
	v_mov_b32_e32 v5, v133
	v_fmac_f32_e32 v5, 0xbe750f2a, v62
	v_mul_f32_e32 v134, 0x3f116cb1, v64
	v_add_f32_e32 v4, v5, v4
	v_mov_b32_e32 v5, v134
	v_fmac_f32_e32 v5, 0xbf52af12, v99
	v_mul_f32_e32 v135, 0xbf6f5d39, v14
	v_add_f32_e32 v5, v5, v4
	v_mov_b32_e32 v4, v135
	v_mul_f32_e32 v136, 0x3f29c268, v103
	v_fmac_f32_e32 v4, 0xbeb58ec6, v100
	v_mov_b32_e32 v6, v136
	v_add_f32_e32 v4, v8, v4
	v_fmac_f32_e32 v6, 0xbf3f9e67, v102
	v_mul_f32_e32 v137, 0x3eedf032, v106
	v_add_f32_e32 v4, v6, v4
	v_mov_b32_e32 v6, v137
	v_fmac_f32_e32 v6, 0x3f62ad3f, v105
	v_mul_f32_e32 v138, 0xbf7e222b, v109
	v_add_f32_e32 v67, v67, v9
	v_add_f32_e32 v4, v6, v4
	v_mov_b32_e32 v6, v138
	v_add_f32_e32 v67, v87, v67
	v_fmac_f32_e32 v6, 0x3df6dbef, v108
	v_mul_f32_e32 v139, 0x3e750f2a, v112
	v_add_f32_e32 v32, v32, v67
	v_add_f32_e32 v4, v6, v4
	v_mov_b32_e32 v6, v139
	v_add_f32_e32 v21, v21, v32
	;; [unrolled: 6-line block ×3, first 2 shown]
	v_fmac_f32_e32 v6, 0x3f116cb1, v114
	v_mul_f32_e32 v141, 0x3df6dbef, v95
	v_add_f32_e32 v17, v17, v21
	v_add_f32_e32 v4, v6, v4
	v_mov_b32_e32 v6, v141
	v_mul_f32_e32 v142, 0xbf788fa5, v88
	v_add_f32_e32 v17, v29, v17
	v_fmac_f32_e32 v6, 0x3f7e222b, v10
	v_mov_b32_e32 v7, v142
	v_add_f32_e32 v17, v20, v17
	v_add_f32_e32 v20, v8, v25
	;; [unrolled: 1-line block ×3, first 2 shown]
	v_fmac_f32_e32 v7, 0x3e750f2a, v11
	v_mul_f32_e32 v143, 0xbeb58ec6, v33
	v_add_f32_e32 v20, v27, v20
	v_add_f32_e32 v6, v7, v6
	v_mov_b32_e32 v7, v143
	v_add_f32_e32 v19, v19, v20
	v_fmac_f32_e32 v7, 0xbf6f5d39, v30
	v_mul_f32_e32 v144, 0x3f62ad3f, v31
	v_add_f32_e32 v19, v23, v19
	v_add_f32_e32 v6, v7, v6
	v_mov_b32_e32 v7, v144
	v_add_f32_e32 v19, v60, v19
	;; [unrolled: 6-line block ×4, first 2 shown]
	v_fmac_f32_e32 v7, 0x3f29c268, v99
	v_mul_f32_e32 v147, 0xbf7e222b, v14
	v_add_f32_e32 v18, v18, v19
	v_fmac_f32_e32 v96, 0xbe750f2a, v10
	v_add_f32_e32 v7, v7, v6
	v_mov_b32_e32 v6, v147
	v_mul_f32_e32 v148, 0xbe750f2a, v103
	v_add_f32_e32 v16, v16, v18
	v_add_f32_e32 v18, v9, v96
	v_fmac_f32_e32 v97, 0x3eedf032, v11
	v_fmac_f32_e32 v6, 0x3df6dbef, v100
	v_mov_b32_e32 v12, v148
	v_add_f32_e32 v18, v97, v18
	v_fmac_f32_e32 v34, 0xbf29c268, v30
	v_add_f32_e32 v6, v8, v6
	v_fmac_f32_e32 v12, 0xbf788fa5, v102
	v_mul_f32_e32 v149, 0x3f6f5d39, v106
	v_add_f32_e32 v18, v34, v18
	v_fmac_f32_e32 v56, 0x3f52af12, v28
	v_add_f32_e32 v6, v12, v6
	v_mov_b32_e32 v12, v149
	v_add_f32_e32 v18, v56, v18
	v_fmac_f32_e32 v59, 0xbf6f5d39, v62
	s_mov_b32 s4, 0xbf788fa5
	v_fmac_f32_e32 v12, 0xbeb58ec6, v105
	v_mul_f32_e32 v150, 0x3eedf032, v109
	v_add_f32_e32 v18, v59, v18
	v_fmac_f32_e32 v65, 0x3f7e222b, v99
	s_mov_b32 s5, 0x3f62ad3f
	v_add_f32_e32 v6, v12, v6
	v_mov_b32_e32 v12, v150
	v_add_f32_e32 v19, v65, v18
	v_fma_f32 v18, v100, s4, -v101
	s_mov_b32 s6, 0xbf3f9e67
	v_fmac_f32_e32 v12, 0x3f62ad3f, v108
	v_mul_f32_e32 v151, 0xbf52af12, v112
	v_add_f32_e32 v18, v8, v18
	v_fma_f32 v20, v102, s5, -v104
	s_mov_b32 s7, 0x3f116cb1
	v_add_f32_e32 v6, v12, v6
	v_mov_b32_e32 v12, v151
	v_add_f32_e32 v18, v20, v18
	v_fma_f32 v20, v105, s6, -v107
	s_mov_b32 s12, 0xbeb58ec6
	v_fmac_f32_e32 v12, 0x3f116cb1, v111
	v_mul_f32_e32 v152, 0xbf29c268, v115
	v_add_f32_e32 v18, v20, v18
	v_fma_f32 v20, v108, s7, -v110
	s_mov_b32 s13, 0x3df6dbef
	v_add_f32_e32 v6, v12, v6
	v_mov_b32_e32 v12, v152
	v_add_f32_e32 v18, v20, v18
	v_fma_f32 v20, v111, s12, -v113
	v_fmac_f32_e32 v12, 0xbf3f9e67, v114
	v_mul_f32_e32 v153, 0x3f116cb1, v95
	v_add_f32_e32 v18, v20, v18
	v_fma_f32 v20, v114, s13, -v116
	v_fmac_f32_e32 v117, 0xbf29c268, v10
	v_add_f32_e32 v6, v12, v6
	v_mov_b32_e32 v12, v153
	v_mul_f32_e32 v154, 0xbeb58ec6, v88
	v_add_f32_e32 v18, v20, v18
	v_add_f32_e32 v20, v9, v117
	v_fmac_f32_e32 v118, 0x3f7e222b, v11
	v_fmac_f32_e32 v12, 0x3f52af12, v10
	v_mov_b32_e32 v13, v154
	v_add_f32_e32 v20, v118, v20
	v_fmac_f32_e32 v119, 0xbf52af12, v30
	v_add_f32_e32 v12, v9, v12
	v_fmac_f32_e32 v13, 0x3f6f5d39, v11
	v_mul_f32_e32 v155, 0xbf788fa5, v33
	v_add_f32_e32 v20, v119, v20
	v_fmac_f32_e32 v120, 0x3e750f2a, v28
	v_add_f32_e32 v12, v13, v12
	v_mov_b32_e32 v13, v155
	v_add_f32_e32 v20, v120, v20
	v_fmac_f32_e32 v121, 0x3eedf032, v62
	v_fmac_f32_e32 v13, 0x3e750f2a, v30
	v_mul_f32_e32 v156, 0xbf3f9e67, v31
	v_add_f32_e32 v20, v121, v20
	v_fmac_f32_e32 v122, 0xbf6f5d39, v99
	v_add_f32_e32 v12, v13, v12
	v_mov_b32_e32 v13, v156
	v_add_f32_e32 v21, v122, v20
	v_fma_f32 v20, v100, s6, -v123
	v_fmac_f32_e32 v13, 0xbf29c268, v28
	v_mul_f32_e32 v157, 0x3df6dbef, v58
	v_add_f32_e32 v20, v8, v20
	v_fma_f32 v22, v102, s13, -v124
	v_add_f32_e32 v12, v13, v12
	v_mov_b32_e32 v13, v157
	v_add_f32_e32 v20, v22, v20
	v_fma_f32 v22, v105, s7, -v125
	v_fmac_f32_e32 v13, 0xbf7e222b, v62
	v_mul_f32_e32 v158, 0x3f62ad3f, v64
	v_add_f32_e32 v20, v22, v20
	v_fma_f32 v22, v108, s4, -v126
	;; [unrolled: 8-line block ×3, first 2 shown]
	v_fmac_f32_e32 v129, 0xbf6f5d39, v10
	v_add_f32_e32 v13, v13, v12
	v_mov_b32_e32 v12, v159
	v_mul_f32_e32 v160, 0xbf6f5d39, v103
	v_add_f32_e32 v20, v22, v20
	v_add_f32_e32 v22, v9, v129
	v_fmac_f32_e32 v130, 0x3f29c268, v11
	v_fmac_f32_e32 v12, 0x3f116cb1, v100
	v_mov_b32_e32 v15, v160
	v_add_f32_e32 v22, v130, v22
	v_fmac_f32_e32 v131, 0x3eedf032, v30
	v_add_f32_e32 v12, v8, v12
	v_fmac_f32_e32 v15, 0xbeb58ec6, v102
	v_mul_f32_e32 v161, 0xbe750f2a, v106
	v_add_f32_e32 v22, v131, v22
	v_fmac_f32_e32 v132, 0xbf7e222b, v28
	v_add_f32_e32 v12, v15, v12
	v_mov_b32_e32 v15, v161
	v_add_f32_e32 v22, v132, v22
	v_fmac_f32_e32 v133, 0x3e750f2a, v62
	v_fmac_f32_e32 v15, 0xbf788fa5, v105
	v_mul_f32_e32 v162, 0x3f29c268, v109
	v_add_f32_e32 v22, v133, v22
	v_fmac_f32_e32 v134, 0x3f52af12, v99
	v_add_f32_e32 v12, v15, v12
	v_mov_b32_e32 v15, v162
	v_add_f32_e32 v23, v134, v22
	v_fma_f32 v22, v100, s12, -v135
	v_fmac_f32_e32 v15, 0xbf3f9e67, v108
	v_mul_f32_e32 v163, 0x3f7e222b, v112
	v_add_f32_e32 v16, v24, v16
	v_add_f32_e32 v22, v8, v22
	v_fma_f32 v24, v102, s6, -v136
	v_add_f32_e32 v12, v15, v12
	v_mov_b32_e32 v15, v163
	v_add_f32_e32 v22, v24, v22
	v_fma_f32 v24, v105, s5, -v137
	v_fmac_f32_e32 v15, 0x3df6dbef, v111
	v_mul_f32_e32 v164, 0x3eedf032, v115
	v_add_f32_e32 v22, v24, v22
	v_fma_f32 v24, v108, s13, -v138
	v_add_f32_e32 v12, v15, v12
	v_mov_b32_e32 v15, v164
	v_add_f32_e32 v22, v24, v22
	v_fma_f32 v24, v111, s4, -v139
	v_fmac_f32_e32 v15, 0x3f62ad3f, v114
	v_mul_f32_e32 v95, 0x3f62ad3f, v95
	v_add_f32_e32 v22, v24, v22
	v_fma_f32 v24, v114, s7, -v140
	v_fmac_f32_e32 v141, 0xbf7e222b, v10
	v_add_f32_e32 v12, v15, v12
	v_mov_b32_e32 v15, v95
	v_mul_f32_e32 v88, 0x3f116cb1, v88
	v_add_f32_e32 v22, v24, v22
	v_add_f32_e32 v24, v9, v141
	v_fmac_f32_e32 v142, 0xbe750f2a, v11
	v_fmac_f32_e32 v15, 0x3eedf032, v10
	v_mov_b32_e32 v165, v88
	v_add_f32_e32 v24, v142, v24
	v_fmac_f32_e32 v143, 0x3f6f5d39, v30
	v_add_f32_e32 v15, v9, v15
	v_fmac_f32_e32 v165, 0x3f52af12, v11
	v_mul_f32_e32 v33, 0x3df6dbef, v33
	v_add_f32_e32 v24, v143, v24
	v_fmac_f32_e32 v144, 0x3eedf032, v28
	v_add_f32_e32 v15, v165, v15
	v_mov_b32_e32 v165, v33
	v_add_f32_e32 v24, v144, v24
	v_fmac_f32_e32 v145, 0xbf52af12, v62
	v_fmac_f32_e32 v165, 0x3f7e222b, v30
	v_mul_f32_e32 v31, 0xbeb58ec6, v31
	v_add_f32_e32 v24, v145, v24
	v_fmac_f32_e32 v146, 0xbf29c268, v99
	v_add_f32_e32 v15, v165, v15
	v_mov_b32_e32 v165, v31
	v_add_f32_e32 v25, v146, v24
	v_fma_f32 v24, v100, s13, -v147
	v_fmac_f32_e32 v165, 0x3f6f5d39, v28
	v_mul_f32_e32 v58, 0xbf3f9e67, v58
	v_add_f32_e32 v17, v26, v17
	v_add_f32_e32 v24, v8, v24
	v_fma_f32 v26, v102, s4, -v148
	v_add_f32_e32 v15, v165, v15
	v_mov_b32_e32 v165, v58
	v_add_f32_e32 v24, v26, v24
	v_fma_f32 v26, v105, s12, -v149
	v_fmac_f32_e32 v165, 0x3f29c268, v62
	v_mul_f32_e32 v64, 0xbf788fa5, v64
	v_add_f32_e32 v24, v26, v24
	v_fma_f32 v26, v108, s5, -v150
	v_add_f32_e32 v15, v165, v15
	v_mov_b32_e32 v165, v64
	v_add_f32_e32 v24, v26, v24
	v_fma_f32 v26, v111, s7, -v151
	v_fmac_f32_e32 v165, 0x3e750f2a, v99
	v_add_f32_e32 v24, v26, v24
	v_fma_f32 v26, v114, s6, -v152
	v_fmac_f32_e32 v153, 0xbf52af12, v10
	v_add_f32_e32 v15, v165, v15
	v_mul_f32_e32 v165, 0xbeedf032, v14
	v_add_f32_e32 v24, v26, v24
	v_add_f32_e32 v26, v9, v153
	v_fmac_f32_e32 v154, 0xbf6f5d39, v11
	v_mov_b32_e32 v14, v165
	v_mul_f32_e32 v103, 0xbf52af12, v103
	v_add_f32_e32 v26, v154, v26
	v_fmac_f32_e32 v155, 0xbe750f2a, v30
	v_fmac_f32_e32 v14, 0x3f62ad3f, v100
	v_mov_b32_e32 v166, v103
	v_add_f32_e32 v26, v155, v26
	v_fmac_f32_e32 v156, 0x3f29c268, v28
	v_add_f32_e32 v14, v8, v14
	v_fmac_f32_e32 v166, 0x3f116cb1, v102
	v_mul_f32_e32 v106, 0xbf7e222b, v106
	v_add_f32_e32 v26, v156, v26
	v_fmac_f32_e32 v157, 0x3f7e222b, v62
	v_add_f32_e32 v14, v166, v14
	v_mov_b32_e32 v166, v106
	v_add_f32_e32 v26, v157, v26
	v_fmac_f32_e32 v158, 0x3eedf032, v99
	v_fmac_f32_e32 v166, 0x3df6dbef, v105
	v_mul_f32_e32 v109, 0xbf6f5d39, v109
	v_add_f32_e32 v27, v158, v26
	v_fma_f32 v26, v100, s7, -v159
	v_fmac_f32_e32 v95, 0xbeedf032, v10
	v_fma_f32 v10, v100, s5, -v165
	v_add_f32_e32 v14, v166, v14
	v_mov_b32_e32 v166, v109
	v_add_f32_e32 v26, v8, v26
	v_add_f32_e32 v8, v8, v10
	v_fma_f32 v10, v102, s7, -v103
	v_fmac_f32_e32 v166, 0xbeb58ec6, v108
	v_mul_f32_e32 v112, 0xbf29c268, v112
	v_add_f32_e32 v8, v10, v8
	v_fma_f32 v10, v105, s13, -v106
	v_add_f32_e32 v14, v166, v14
	v_mov_b32_e32 v166, v112
	v_fma_f32 v29, v102, s12, -v160
	v_add_f32_e32 v9, v9, v95
	v_fmac_f32_e32 v88, 0xbf52af12, v11
	v_add_f32_e32 v8, v10, v8
	v_fma_f32 v10, v108, s12, -v109
	v_fmac_f32_e32 v166, 0xbf3f9e67, v111
	v_mul_f32_e32 v115, 0xbe750f2a, v115
	v_add_f32_e32 v26, v29, v26
	v_fma_f32 v29, v105, s4, -v161
	v_add_f32_e32 v9, v88, v9
	v_fmac_f32_e32 v33, 0xbf7e222b, v30
	v_add_f32_e32 v8, v10, v8
	v_fma_f32 v10, v111, s6, -v112
	v_add_f32_e32 v14, v166, v14
	v_mov_b32_e32 v166, v115
	v_add_f32_e32 v26, v29, v26
	v_fma_f32 v29, v108, s6, -v162
	v_add_f32_e32 v9, v33, v9
	v_fmac_f32_e32 v31, 0xbf6f5d39, v28
	v_add_f32_e32 v8, v10, v8
	v_fma_f32 v10, v114, s4, -v115
	v_fmac_f32_e32 v166, 0xbf788fa5, v114
	v_add_f32_e32 v17, v35, v17
	v_add_f32_e32 v26, v29, v26
	v_fma_f32 v29, v111, s13, -v163
	v_add_f32_e32 v9, v31, v9
	v_fmac_f32_e32 v58, 0xbf29c268, v62
	v_add_f32_e32 v8, v10, v8
	v_mul_u32_u24_e32 v10, 0x75, v93
	v_add_f32_e32 v14, v166, v14
	v_add_f32_e32 v17, v66, v17
	;; [unrolled: 1-line block ×3, first 2 shown]
	v_fma_f32 v29, v114, s5, -v164
	v_add_f32_e32 v9, v58, v9
	v_fmac_f32_e32 v64, 0xbe750f2a, v99
	v_add_lshl_u32 v10, v10, v94, 3
	v_add_f32_e32 v26, v29, v26
	v_add_f32_e32 v9, v64, v9
	ds_write2_b64 v10, v[16:17], v[14:15] offset1:9
	ds_write2_b64 v10, v[12:13], v[6:7] offset0:18 offset1:27
	ds_write2_b64 v10, v[4:5], v[2:3] offset0:36 offset1:45
	;; [unrolled: 1-line block ×5, first 2 shown]
	ds_write_b64 v10, v[8:9] offset:864
.LBB0_9:
	s_or_b64 exec, exec, s[0:1]
	v_add_u32_e32 v20, 0x400, v91
	s_waitcnt lgkmcnt(0)
	s_barrier
	ds_read2_b64 v[4:7], v20 offset0:106 offset1:223
	v_add_u32_e32 v21, 0x1400, v91
	ds_read2_b64 v[8:11], v21 offset0:62 offset1:179
	v_add_u32_e32 v22, 0xc00, v91
	ds_read2_b64 v[0:3], v91 offset1:117
	ds_read2_b64 v[12:15], v22 offset0:84 offset1:201
	ds_read_b64 v[18:19], v91 offset:7488
	s_waitcnt lgkmcnt(4)
	v_mul_f32_e32 v23, v37, v7
	v_fmac_f32_e32 v23, v36, v6
	v_mul_f32_e32 v6, v37, v6
	v_fma_f32 v24, v36, v7, -v6
	s_waitcnt lgkmcnt(3)
	v_mul_f32_e32 v6, v39, v8
	v_mul_f32_e32 v25, v39, v9
	v_fma_f32 v9, v38, v9, -v6
	s_waitcnt lgkmcnt(1)
	v_mul_f32_e32 v6, v37, v12
	v_mul_f32_e32 v26, v37, v13
	v_fma_f32 v13, v36, v13, -v6
	v_mul_f32_e32 v6, v39, v10
	v_fmac_f32_e32 v25, v38, v8
	v_fma_f32 v28, v38, v11, -v6
	v_mul_f32_e32 v6, v41, v14
	v_fma_f32 v30, v40, v15, -v6
	s_waitcnt lgkmcnt(0)
	v_mul_f32_e32 v6, v43, v18
	v_add_f32_e32 v7, v23, v25
	v_mul_f32_e32 v31, v43, v19
	v_fma_f32 v19, v42, v19, -v6
	v_add_f32_e32 v6, v0, v23
	v_fma_f32 v0, -0.5, v7, v0
	v_sub_f32_e32 v7, v24, v9
	v_mov_b32_e32 v8, v0
	v_fmac_f32_e32 v8, 0xbf5db3d7, v7
	v_fmac_f32_e32 v0, 0x3f5db3d7, v7
	v_add_f32_e32 v7, v1, v24
	v_mul_f32_e32 v27, v39, v11
	v_add_f32_e32 v7, v7, v9
	v_add_f32_e32 v9, v24, v9
	v_fmac_f32_e32 v26, v36, v12
	v_fmac_f32_e32 v27, v38, v10
	v_fma_f32 v1, -0.5, v9, v1
	v_sub_f32_e32 v10, v23, v25
	v_mov_b32_e32 v9, v1
	v_add_f32_e32 v11, v26, v27
	v_fmac_f32_e32 v9, 0x3f5db3d7, v10
	v_fmac_f32_e32 v1, 0xbf5db3d7, v10
	v_add_f32_e32 v10, v2, v26
	v_fma_f32 v2, -0.5, v11, v2
	v_sub_f32_e32 v11, v13, v28
	v_mov_b32_e32 v12, v2
	v_mul_f32_e32 v29, v41, v15
	v_fmac_f32_e32 v12, 0xbf5db3d7, v11
	v_fmac_f32_e32 v2, 0x3f5db3d7, v11
	v_add_f32_e32 v11, v3, v13
	v_add_f32_e32 v13, v13, v28
	v_fmac_f32_e32 v29, v40, v14
	v_fmac_f32_e32 v31, v42, v18
	v_fmac_f32_e32 v3, -0.5, v13
	v_sub_f32_e32 v14, v26, v27
	v_mov_b32_e32 v13, v3
	v_add_f32_e32 v15, v29, v31
	v_fmac_f32_e32 v13, 0x3f5db3d7, v14
	v_fmac_f32_e32 v3, 0xbf5db3d7, v14
	v_add_f32_e32 v14, v4, v29
	v_fma_f32 v4, -0.5, v15, v4
	v_sub_f32_e32 v15, v30, v19
	v_mov_b32_e32 v18, v4
	v_fmac_f32_e32 v18, 0xbf5db3d7, v15
	v_fmac_f32_e32 v4, 0x3f5db3d7, v15
	v_add_f32_e32 v15, v5, v30
	v_add_f32_e32 v15, v15, v19
	;; [unrolled: 1-line block ×3, first 2 shown]
	v_fmac_f32_e32 v5, -0.5, v19
	v_add_f32_e32 v6, v6, v25
	v_sub_f32_e32 v23, v29, v31
	v_mov_b32_e32 v19, v5
	v_add_f32_e32 v10, v10, v27
	v_add_f32_e32 v11, v11, v28
	;; [unrolled: 1-line block ×3, first 2 shown]
	v_fmac_f32_e32 v19, 0x3f5db3d7, v23
	v_fmac_f32_e32 v5, 0xbf5db3d7, v23
	s_barrier
	ds_write2_b64 v91, v[6:7], v[8:9] offset1:117
	ds_write2_b64 v20, v[0:1], v[10:11] offset0:106 offset1:223
	ds_write2_b64 v22, v[12:13], v[2:3] offset0:84 offset1:201
	v_add_u32_e32 v0, 0x1400, v98
	ds_write2_b64 v0, v[14:15], v[18:19] offset0:62 offset1:179
	ds_write_b64 v98, v[4:5] offset:7488
	s_waitcnt lgkmcnt(0)
	s_barrier
	ds_read2_b64 v[0:3], v20 offset0:106 offset1:223
	ds_read2_b64 v[4:7], v91 offset1:117
	ds_read2_b64 v[8:11], v21 offset0:62 offset1:179
	ds_read2_b64 v[12:15], v22 offset0:84 offset1:201
	ds_read_b64 v[18:19], v91 offset:7488
	s_waitcnt lgkmcnt(4)
	v_mul_f32_e32 v23, v45, v3
	v_fmac_f32_e32 v23, v44, v2
	v_mul_f32_e32 v2, v45, v2
	v_fma_f32 v24, v44, v3, -v2
	s_waitcnt lgkmcnt(2)
	v_mul_f32_e32 v2, v47, v8
	v_mul_f32_e32 v25, v47, v9
	v_fma_f32 v9, v46, v9, -v2
	s_waitcnt lgkmcnt(1)
	v_mul_f32_e32 v2, v49, v12
	v_mul_f32_e32 v26, v49, v13
	v_fma_f32 v13, v48, v13, -v2
	v_mul_f32_e32 v2, v51, v10
	v_fmac_f32_e32 v25, v46, v8
	v_fma_f32 v28, v50, v11, -v2
	v_mul_f32_e32 v2, v53, v14
	v_fma_f32 v30, v52, v15, -v2
	s_waitcnt lgkmcnt(0)
	v_mul_f32_e32 v2, v55, v18
	v_add_f32_e32 v3, v23, v25
	v_mul_f32_e32 v31, v55, v19
	v_fma_f32 v19, v54, v19, -v2
	v_add_f32_e32 v2, v4, v23
	v_fma_f32 v4, -0.5, v3, v4
	v_sub_f32_e32 v3, v24, v9
	v_mov_b32_e32 v8, v4
	v_fmac_f32_e32 v8, 0xbf5db3d7, v3
	v_fmac_f32_e32 v4, 0x3f5db3d7, v3
	v_add_f32_e32 v3, v5, v24
	v_mul_f32_e32 v27, v51, v11
	v_add_f32_e32 v3, v3, v9
	v_add_f32_e32 v9, v24, v9
	v_fmac_f32_e32 v26, v48, v12
	v_fmac_f32_e32 v27, v50, v10
	v_fma_f32 v5, -0.5, v9, v5
	v_sub_f32_e32 v10, v23, v25
	v_mov_b32_e32 v9, v5
	v_add_f32_e32 v11, v26, v27
	v_fmac_f32_e32 v9, 0x3f5db3d7, v10
	v_fmac_f32_e32 v5, 0xbf5db3d7, v10
	v_add_f32_e32 v10, v6, v26
	v_fma_f32 v6, -0.5, v11, v6
	v_sub_f32_e32 v11, v13, v28
	v_mov_b32_e32 v12, v6
	v_mul_f32_e32 v29, v53, v15
	v_fmac_f32_e32 v12, 0xbf5db3d7, v11
	v_fmac_f32_e32 v6, 0x3f5db3d7, v11
	v_add_f32_e32 v11, v7, v13
	v_add_f32_e32 v13, v13, v28
	v_fmac_f32_e32 v29, v52, v14
	v_fmac_f32_e32 v31, v54, v18
	v_fmac_f32_e32 v7, -0.5, v13
	v_sub_f32_e32 v14, v26, v27
	v_mov_b32_e32 v13, v7
	v_add_f32_e32 v15, v29, v31
	v_fmac_f32_e32 v13, 0x3f5db3d7, v14
	v_fmac_f32_e32 v7, 0xbf5db3d7, v14
	v_add_f32_e32 v14, v0, v29
	v_fma_f32 v0, -0.5, v15, v0
	v_sub_f32_e32 v15, v30, v19
	v_mov_b32_e32 v18, v0
	v_fmac_f32_e32 v18, 0xbf5db3d7, v15
	v_fmac_f32_e32 v0, 0x3f5db3d7, v15
	v_add_f32_e32 v15, v1, v30
	v_add_f32_e32 v15, v15, v19
	;; [unrolled: 1-line block ×3, first 2 shown]
	v_fmac_f32_e32 v1, -0.5, v19
	v_add_f32_e32 v2, v2, v25
	v_sub_f32_e32 v23, v29, v31
	v_mov_b32_e32 v19, v1
	v_add_f32_e32 v10, v10, v27
	v_add_f32_e32 v11, v11, v28
	;; [unrolled: 1-line block ×3, first 2 shown]
	v_fmac_f32_e32 v19, 0x3f5db3d7, v23
	v_fmac_f32_e32 v1, 0xbf5db3d7, v23
	ds_write_b64 v91, v[8:9] offset:2808
	ds_write_b64 v91, v[4:5] offset:5616
	ds_write2_b64 v91, v[2:3], v[10:11] offset1:117
	ds_write_b64 v91, v[14:15] offset:1872
	ds_write2_b64 v22, v[12:13], v[18:19] offset0:84 offset1:201
	v_add_u32_e32 v2, 0x1800, v91
	ds_write2_b64 v2, v[6:7], v[0:1] offset0:51 offset1:168
	s_waitcnt lgkmcnt(0)
	s_barrier
	ds_read2_b64 v[0:3], v91 offset1:117
	v_mad_u64_u32 v[16:17], s[0:1], s10, v72, 0
	s_mov_b32 s0, 0xad57473c
	s_mov_b32 s1, 0x3f4f1e63
	s_waitcnt lgkmcnt(0)
	v_mul_f32_e32 v5, v86, v1
	v_fmac_f32_e32 v5, v85, v0
	v_cvt_f64_f32_e32 v[5:6], v5
	v_mov_b32_e32 v4, v17
	v_mul_f32_e32 v0, v86, v0
	v_fma_f32 v0, v85, v1, -v0
	v_mul_f64 v[5:6], v[5:6], s[0:1]
	v_cvt_f64_f32_e32 v[0:1], v0
	v_mov_b32_e32 v14, s3
	s_mul_hi_u32 s3, s8, 0xaf8
	v_mul_f64 v[0:1], v[0:1], s[0:1]
	v_mad_u64_u32 v[7:8], s[4:5], s11, v72, v[4:5]
	v_mad_u64_u32 v[8:9], s[4:5], s8, v92, 0
	v_mov_b32_e32 v17, v7
	v_cvt_f32_f64_e32 v10, v[5:6]
	v_mov_b32_e32 v4, v9
	v_mad_u64_u32 v[12:13], s[4:5], s9, v92, v[4:5]
	ds_read2_b64 v[4:7], v20 offset0:106 offset1:223
	v_cvt_f32_f64_e32 v11, v[0:1]
	v_mov_b32_e32 v9, v12
	v_lshlrev_b64 v[0:1], 3, v[16:17]
	s_mul_i32 s5, s8, 0xaf8
	s_waitcnt lgkmcnt(0)
	v_mul_f32_e32 v12, v82, v7
	v_fmac_f32_e32 v12, v81, v6
	v_cvt_f64_f32_e32 v[12:13], v12
	v_mul_f32_e32 v6, v82, v6
	v_fma_f32 v6, v81, v7, -v6
	v_cvt_f64_f32_e32 v[6:7], v6
	v_mul_f64 v[12:13], v[12:13], s[0:1]
	v_add_co_u32_e32 v16, vcc, s2, v0
	v_addc_co_u32_e32 v17, vcc, v14, v1, vcc
	v_lshlrev_b64 v[0:1], 3, v[8:9]
	v_mul_f64 v[14:15], v[6:7], s[0:1]
	ds_read2_b64 v[6:9], v21 offset0:62 offset1:179
	v_add_co_u32_e32 v0, vcc, v16, v0
	v_addc_co_u32_e32 v1, vcc, v17, v1, vcc
	global_store_dwordx2 v[0:1], v[10:11], off
	v_cvt_f32_f64_e32 v10, v[12:13]
	s_waitcnt lgkmcnt(0)
	v_mul_f32_e32 v12, v84, v7
	v_fmac_f32_e32 v12, v83, v6
	v_mul_f32_e32 v6, v84, v6
	v_fma_f32 v6, v83, v7, -v6
	v_cvt_f64_f32_e32 v[6:7], v6
	v_cvt_f64_f32_e32 v[12:13], v12
	v_cvt_f32_f64_e32 v11, v[14:15]
	s_mul_i32 s2, s9, 0xaf8
	v_mul_f64 v[6:7], v[6:7], s[0:1]
	v_mul_f64 v[12:13], v[12:13], s[0:1]
	s_add_i32 s4, s3, s2
	v_mov_b32_e32 v15, s4
	v_add_co_u32_e32 v14, vcc, s5, v0
	v_mul_f32_e32 v0, v80, v3
	v_addc_co_u32_e32 v15, vcc, v1, v15, vcc
	v_fmac_f32_e32 v0, v79, v2
	global_store_dwordx2 v[14:15], v[10:11], off
	v_cvt_f32_f64_e32 v11, v[6:7]
	v_cvt_f64_f32_e32 v[6:7], v0
	v_mul_f32_e32 v0, v80, v2
	v_fma_f32 v0, v79, v3, -v0
	v_cvt_f32_f64_e32 v10, v[12:13]
	v_cvt_f64_f32_e32 v[12:13], v0
	ds_read2_b64 v[0:3], v22 offset0:84 offset1:201
	v_mov_b32_e32 v16, s4
	v_add_co_u32_e32 v14, vcc, s5, v14
	v_addc_co_u32_e32 v15, vcc, v15, v16, vcc
	global_store_dwordx2 v[14:15], v[10:11], off
	v_mul_f64 v[10:11], v[12:13], s[0:1]
	s_waitcnt lgkmcnt(0)
	v_mul_f32_e32 v12, v78, v1
	v_fmac_f32_e32 v12, v77, v0
	v_mul_f32_e32 v0, v78, v0
	v_fma_f32 v0, v77, v1, -v0
	v_mul_f64 v[6:7], v[6:7], s[0:1]
	v_cvt_f64_f32_e32 v[0:1], v0
	v_cvt_f64_f32_e32 v[12:13], v12
	v_mov_b32_e32 v16, 0xffffedb8
	v_mad_u64_u32 v[14:15], s[2:3], s8, v16, v[14:15]
	v_mul_f64 v[0:1], v[0:1], s[0:1]
	v_mul_f64 v[12:13], v[12:13], s[0:1]
	v_cvt_f32_f64_e32 v6, v[6:7]
	v_cvt_f32_f64_e32 v7, v[10:11]
	s_mul_i32 s2, s9, 0xffffedb8
	s_sub_i32 s6, s2, s8
	v_add_u32_e32 v15, s6, v15
	global_store_dwordx2 v[14:15], v[6:7], off
	v_cvt_f32_f64_e32 v7, v[0:1]
	v_mul_f32_e32 v0, v76, v9
	v_fmac_f32_e32 v0, v75, v8
	v_mul_f32_e32 v8, v76, v8
	v_fma_f32 v8, v75, v9, -v8
	v_cvt_f32_f64_e32 v6, v[12:13]
	v_cvt_f64_f32_e32 v[0:1], v0
	v_cvt_f64_f32_e32 v[8:9], v8
	v_mov_b32_e32 v11, s4
	v_add_co_u32_e32 v10, vcc, s5, v14
	v_addc_co_u32_e32 v11, vcc, v15, v11, vcc
	global_store_dwordx2 v[10:11], v[6:7], off
	v_mul_f64 v[0:1], v[0:1], s[0:1]
	v_mul_f64 v[6:7], v[8:9], s[0:1]
	v_mul_f32_e32 v8, v71, v5
	v_fmac_f32_e32 v8, v70, v4
	v_cvt_f64_f32_e32 v[8:9], v8
	v_mul_f32_e32 v4, v71, v4
	v_fma_f32 v4, v70, v5, -v4
	v_cvt_f64_f32_e32 v[4:5], v4
	v_cvt_f32_f64_e32 v0, v[0:1]
	v_cvt_f32_f64_e32 v1, v[6:7]
	v_mul_f64 v[6:7], v[8:9], s[0:1]
	v_mul_f64 v[4:5], v[4:5], s[0:1]
	v_mov_b32_e32 v9, s4
	v_add_co_u32_e32 v8, vcc, s5, v10
	v_addc_co_u32_e32 v9, vcc, v11, v9, vcc
	global_store_dwordx2 v[8:9], v[0:1], off
	v_cvt_f32_f64_e32 v0, v[6:7]
	v_mul_f32_e32 v6, v74, v3
	v_fmac_f32_e32 v6, v73, v2
	v_mul_f32_e32 v2, v74, v2
	v_cvt_f32_f64_e32 v1, v[4:5]
	v_mad_u64_u32 v[4:5], s[2:3], s8, v16, v[8:9]
	v_fma_f32 v2, v73, v3, -v2
	v_cvt_f64_f32_e32 v[6:7], v6
	v_cvt_f64_f32_e32 v[2:3], v2
	ds_read_b64 v[8:9], v91 offset:7488
	v_add_u32_e32 v5, s6, v5
	global_store_dwordx2 v[4:5], v[0:1], off
	v_mul_f64 v[0:1], v[6:7], s[0:1]
	v_mul_f64 v[2:3], v[2:3], s[0:1]
	s_waitcnt lgkmcnt(0)
	v_mul_f32_e32 v6, v69, v9
	v_fmac_f32_e32 v6, v68, v8
	v_mul_f32_e32 v8, v69, v8
	v_fma_f32 v8, v68, v9, -v8
	v_cvt_f64_f32_e32 v[6:7], v6
	v_cvt_f64_f32_e32 v[8:9], v8
	v_cvt_f32_f64_e32 v0, v[0:1]
	v_cvt_f32_f64_e32 v1, v[2:3]
	v_mul_f64 v[2:3], v[6:7], s[0:1]
	v_mul_f64 v[6:7], v[8:9], s[0:1]
	v_mov_b32_e32 v8, s4
	v_add_co_u32_e32 v4, vcc, s5, v4
	v_addc_co_u32_e32 v5, vcc, v5, v8, vcc
	global_store_dwordx2 v[4:5], v[0:1], off
	v_cvt_f32_f64_e32 v0, v[2:3]
	v_cvt_f32_f64_e32 v1, v[6:7]
	v_mov_b32_e32 v3, s4
	v_add_co_u32_e32 v2, vcc, s5, v4
	v_addc_co_u32_e32 v3, vcc, v5, v3, vcc
	global_store_dwordx2 v[2:3], v[0:1], off
.LBB0_10:
	s_endpgm
	.section	.rodata,"a",@progbits
	.p2align	6, 0x0
	.amdhsa_kernel bluestein_single_back_len1053_dim1_sp_op_CI_CI
		.amdhsa_group_segment_fixed_size 8424
		.amdhsa_private_segment_fixed_size 0
		.amdhsa_kernarg_size 104
		.amdhsa_user_sgpr_count 6
		.amdhsa_user_sgpr_private_segment_buffer 1
		.amdhsa_user_sgpr_dispatch_ptr 0
		.amdhsa_user_sgpr_queue_ptr 0
		.amdhsa_user_sgpr_kernarg_segment_ptr 1
		.amdhsa_user_sgpr_dispatch_id 0
		.amdhsa_user_sgpr_flat_scratch_init 0
		.amdhsa_user_sgpr_private_segment_size 0
		.amdhsa_uses_dynamic_stack 0
		.amdhsa_system_sgpr_private_segment_wavefront_offset 0
		.amdhsa_system_sgpr_workgroup_id_x 1
		.amdhsa_system_sgpr_workgroup_id_y 0
		.amdhsa_system_sgpr_workgroup_id_z 0
		.amdhsa_system_sgpr_workgroup_info 0
		.amdhsa_system_vgpr_workitem_id 0
		.amdhsa_next_free_vgpr 241
		.amdhsa_next_free_sgpr 20
		.amdhsa_reserve_vcc 1
		.amdhsa_reserve_flat_scratch 0
		.amdhsa_float_round_mode_32 0
		.amdhsa_float_round_mode_16_64 0
		.amdhsa_float_denorm_mode_32 3
		.amdhsa_float_denorm_mode_16_64 3
		.amdhsa_dx10_clamp 1
		.amdhsa_ieee_mode 1
		.amdhsa_fp16_overflow 0
		.amdhsa_exception_fp_ieee_invalid_op 0
		.amdhsa_exception_fp_denorm_src 0
		.amdhsa_exception_fp_ieee_div_zero 0
		.amdhsa_exception_fp_ieee_overflow 0
		.amdhsa_exception_fp_ieee_underflow 0
		.amdhsa_exception_fp_ieee_inexact 0
		.amdhsa_exception_int_div_zero 0
	.end_amdhsa_kernel
	.text
.Lfunc_end0:
	.size	bluestein_single_back_len1053_dim1_sp_op_CI_CI, .Lfunc_end0-bluestein_single_back_len1053_dim1_sp_op_CI_CI
                                        ; -- End function
	.section	.AMDGPU.csdata,"",@progbits
; Kernel info:
; codeLenInByte = 12824
; NumSgprs: 24
; NumVgprs: 241
; ScratchSize: 0
; MemoryBound: 0
; FloatMode: 240
; IeeeMode: 1
; LDSByteSize: 8424 bytes/workgroup (compile time only)
; SGPRBlocks: 2
; VGPRBlocks: 60
; NumSGPRsForWavesPerEU: 24
; NumVGPRsForWavesPerEU: 241
; Occupancy: 1
; WaveLimiterHint : 1
; COMPUTE_PGM_RSRC2:SCRATCH_EN: 0
; COMPUTE_PGM_RSRC2:USER_SGPR: 6
; COMPUTE_PGM_RSRC2:TRAP_HANDLER: 0
; COMPUTE_PGM_RSRC2:TGID_X_EN: 1
; COMPUTE_PGM_RSRC2:TGID_Y_EN: 0
; COMPUTE_PGM_RSRC2:TGID_Z_EN: 0
; COMPUTE_PGM_RSRC2:TIDIG_COMP_CNT: 0
	.type	__hip_cuid_598e502b2e3aea0,@object ; @__hip_cuid_598e502b2e3aea0
	.section	.bss,"aw",@nobits
	.globl	__hip_cuid_598e502b2e3aea0
__hip_cuid_598e502b2e3aea0:
	.byte	0                               ; 0x0
	.size	__hip_cuid_598e502b2e3aea0, 1

	.ident	"AMD clang version 19.0.0git (https://github.com/RadeonOpenCompute/llvm-project roc-6.4.0 25133 c7fe45cf4b819c5991fe208aaa96edf142730f1d)"
	.section	".note.GNU-stack","",@progbits
	.addrsig
	.addrsig_sym __hip_cuid_598e502b2e3aea0
	.amdgpu_metadata
---
amdhsa.kernels:
  - .args:
      - .actual_access:  read_only
        .address_space:  global
        .offset:         0
        .size:           8
        .value_kind:     global_buffer
      - .actual_access:  read_only
        .address_space:  global
        .offset:         8
        .size:           8
        .value_kind:     global_buffer
      - .actual_access:  read_only
        .address_space:  global
        .offset:         16
        .size:           8
        .value_kind:     global_buffer
      - .actual_access:  read_only
        .address_space:  global
        .offset:         24
        .size:           8
        .value_kind:     global_buffer
      - .actual_access:  read_only
        .address_space:  global
        .offset:         32
        .size:           8
        .value_kind:     global_buffer
      - .offset:         40
        .size:           8
        .value_kind:     by_value
      - .address_space:  global
        .offset:         48
        .size:           8
        .value_kind:     global_buffer
      - .address_space:  global
        .offset:         56
        .size:           8
        .value_kind:     global_buffer
      - .address_space:  global
        .offset:         64
        .size:           8
        .value_kind:     global_buffer
      - .address_space:  global
        .offset:         72
        .size:           8
        .value_kind:     global_buffer
      - .offset:         80
        .size:           4
        .value_kind:     by_value
      - .address_space:  global
        .offset:         88
        .size:           8
        .value_kind:     global_buffer
      - .address_space:  global
        .offset:         96
        .size:           8
        .value_kind:     global_buffer
    .group_segment_fixed_size: 8424
    .kernarg_segment_align: 8
    .kernarg_segment_size: 104
    .language:       OpenCL C
    .language_version:
      - 2
      - 0
    .max_flat_workgroup_size: 117
    .name:           bluestein_single_back_len1053_dim1_sp_op_CI_CI
    .private_segment_fixed_size: 0
    .sgpr_count:     24
    .sgpr_spill_count: 0
    .symbol:         bluestein_single_back_len1053_dim1_sp_op_CI_CI.kd
    .uniform_work_group_size: 1
    .uses_dynamic_stack: false
    .vgpr_count:     241
    .vgpr_spill_count: 0
    .wavefront_size: 64
amdhsa.target:   amdgcn-amd-amdhsa--gfx906
amdhsa.version:
  - 1
  - 2
...

	.end_amdgpu_metadata
